;; amdgpu-corpus repo=ROCm/rocBLAS kind=compiled arch=gfx1030 opt=O3
	.amdgcn_target "amdgcn-amd-amdhsa--gfx1030"
	.amdhsa_code_object_version 6
	.section	.text._ZL20rocblas_rotmg_kernelILi32EPfPKfEvT0_llS3_llS3_llT1_llS3_lli,"axG",@progbits,_ZL20rocblas_rotmg_kernelILi32EPfPKfEvT0_llS3_llS3_llT1_llS3_lli,comdat
	.globl	_ZL20rocblas_rotmg_kernelILi32EPfPKfEvT0_llS3_llS3_llT1_llS3_lli ; -- Begin function _ZL20rocblas_rotmg_kernelILi32EPfPKfEvT0_llS3_llS3_llT1_llS3_lli
	.p2align	8
	.type	_ZL20rocblas_rotmg_kernelILi32EPfPKfEvT0_llS3_llS3_llT1_llS3_lli,@function
_ZL20rocblas_rotmg_kernelILi32EPfPKfEvT0_llS3_llS3_llT1_llS3_lli: ; @_ZL20rocblas_rotmg_kernelILi32EPfPKfEvT0_llS3_llS3_llT1_llS3_lli
; %bb.0:
	s_load_dword s0, s[4:5], 0x78
	v_lshl_or_b32 v5, s6, 5, v0
	s_waitcnt lgkmcnt(0)
	v_cmp_gt_i32_e32 vcc_lo, s0, v5
	s_and_saveexec_b32 s0, vcc_lo
	s_cbranch_execz .LBB0_4
; %bb.1:
	s_load_dwordx16 s[8:23], s[4:5], 0x0
                                        ; implicit-def: $vgpr14
                                        ; implicit-def: $vgpr13
                                        ; implicit-def: $vgpr12
	s_waitcnt lgkmcnt(0)
	v_mad_u64_u32 v[0:1], null, s12, v5, 0
	s_lshl_b64 s[0:1], s[10:11], 2
	v_mad_u64_u32 v[1:2], null, s13, v5, v[1:2]
	v_lshlrev_b64 v[0:1], 2, v[0:1]
	v_add_co_u32 v0, vcc_lo, s8, v0
	v_add_co_ci_u32_e64 v1, null, s9, v1, vcc_lo
	v_add_co_u32 v6, vcc_lo, v0, s0
	v_add_co_ci_u32_e64 v7, null, s1, v1, vcc_lo
	v_mad_u64_u32 v[0:1], null, s18, v5, 0
	global_load_dword v15, v[6:7], off
	s_clause 0x1
	s_load_dwordx8 s[24:31], s[4:5], 0x40
	s_load_dwordx8 s[0:7], s[4:5], 0x60
	s_waitcnt lgkmcnt(0)
	v_mad_u64_u32 v[2:3], null, s24, v5, 0
	v_mad_u64_u32 v[8:9], null, s19, v5, v[1:2]
	v_mov_b32_e32 v1, v3
	v_mad_u64_u32 v[9:10], null, s4, v5, 0
	v_mad_u64_u32 v[3:4], null, s25, v5, v[1:2]
	v_mov_b32_e32 v1, v8
	v_mov_b32_e32 v4, v10
	v_lshlrev_b64 v[0:1], 2, v[0:1]
	v_mad_u64_u32 v[10:11], null, s5, v5, v[4:5]
	s_lshl_b64 s[4:5], s[16:17], 2
	v_add_co_u32 v4, vcc_lo, s14, v0
	v_add_co_ci_u32_e64 v8, null, s15, v1, vcc_lo
	v_lshlrev_b64 v[0:1], 2, v[2:3]
	v_add_co_u32 v2, vcc_lo, v4, s4
	v_add_co_ci_u32_e64 v3, null, s5, v8, vcc_lo
	s_lshl_b64 s[4:5], s[22:23], 2
	v_add_co_u32 v4, vcc_lo, s20, v0
	v_add_co_ci_u32_e64 v11, null, s21, v1, vcc_lo
	v_lshlrev_b64 v[0:1], 2, v[9:10]
	v_add_co_u32 v8, vcc_lo, v4, s4
	v_add_co_ci_u32_e64 v9, null, s5, v11, vcc_lo
                                        ; implicit-def: $vgpr4
	v_add_co_u32 v0, vcc_lo, s0, v0
	v_add_co_ci_u32_e64 v1, null, s1, v1, vcc_lo
	s_lshl_b64 s[0:1], s[2:3], 2
	v_add_co_u32 v0, vcc_lo, v0, s0
	v_add_co_ci_u32_e64 v1, null, s1, v1, vcc_lo
	s_mov_b32 s0, 0
	s_mov_b32 s1, exec_lo
	s_waitcnt vmcnt(0)
	v_cmpx_ngt_f32_e32 0, v15
	s_xor_b32 s4, exec_lo, s1
	s_cbranch_execnz .LBB0_5
; %bb.2:
	s_andn2_saveexec_b32 s1, s4
	s_cbranch_execnz .LBB0_35
.LBB0_3:
	s_or_b32 exec_lo, exec_lo, s1
	s_and_b32 exec_lo, exec_lo, s0
	s_cbranch_execnz .LBB0_36
.LBB0_4:
	s_endpgm
.LBB0_5:
	v_mad_u64_u32 v[10:11], null, s30, v5, 0
	s_lshl_b64 s[0:1], s[28:29], 2
	v_mov_b32_e32 v4, v11
	v_mad_u64_u32 v[4:5], null, s31, v5, v[4:5]
	v_mov_b32_e32 v11, v4
	v_lshlrev_b64 v[4:5], 2, v[10:11]
	v_add_co_u32 v4, vcc_lo, s26, v4
	v_add_co_ci_u32_e64 v5, null, s27, v5, vcc_lo
	v_add_co_u32 v10, vcc_lo, v4, s0
	v_add_co_ci_u32_e64 v11, null, s1, v5, vcc_lo
	s_mov_b32 s1, exec_lo
	global_load_dword v18, v[2:3], off
	global_load_dword v16, v[10:11], off
	s_waitcnt vmcnt(0)
	v_mul_f32_e32 v17, v18, v16
	v_cmp_neq_f32_e64 s0, 0, v17
	v_cmpx_eq_f32_e32 0, v17
	s_xor_b32 s1, exec_lo, s1
	s_cbranch_execz .LBB0_7
; %bb.6:
	v_mov_b32_e32 v2, -2.0
                                        ; implicit-def: $vgpr6_vgpr7
                                        ; implicit-def: $vgpr8_vgpr9
                                        ; implicit-def: $vgpr15
                                        ; implicit-def: $vgpr16
                                        ; implicit-def: $vgpr17
                                        ; implicit-def: $vgpr18
                                        ; implicit-def: $vgpr10_vgpr11
	global_store_dword v[0:1], v2, off
                                        ; implicit-def: $vgpr2_vgpr3
.LBB0_7:
	s_or_saveexec_b32 s5, s1
	v_mov_b32_e32 v4, 0
	v_mov_b32_e32 v14, -2.0
	v_mov_b32_e32 v5, 0
	v_mov_b32_e32 v13, 0
	;; [unrolled: 1-line block ×3, first 2 shown]
	s_xor_b32 exec_lo, exec_lo, s5
	s_cbranch_execz .LBB0_34
; %bb.8:
	global_load_dword v19, v[8:9], off
	v_mul_f32_e32 v5, v16, v17
                                        ; implicit-def: $vgpr14
                                        ; implicit-def: $vgpr12
	s_waitcnt vmcnt(0)
	v_mul_f32_e32 v20, v15, v19
	v_mul_f32_e32 v4, v19, v20
	v_cmp_ngt_f32_e64 s1, |v4|, |v5|
                                        ; implicit-def: $vgpr4
	s_and_saveexec_b32 s2, s1
	s_xor_b32 s2, exec_lo, s2
	s_cbranch_execz .LBB0_14
; %bb.9:
                                        ; implicit-def: $vgpr4
                                        ; implicit-def: $vgpr12
	s_mov_b32 s1, exec_lo
	v_cmpx_ngt_f32_e32 0, v5
	s_xor_b32 s3, exec_lo, s1
	s_cbranch_execz .LBB0_11
; %bb.10:
	v_div_scale_f32 v4, null, v17, v17, v20
	v_div_scale_f32 v5, null, v16, v16, v19
	v_div_scale_f32 v22, vcc_lo, v20, v17, v20
	v_rcp_f32_e32 v12, v4
	v_rcp_f32_e32 v13, v5
	v_fma_f32 v14, -v4, v12, 1.0
	v_fma_f32 v21, -v5, v13, 1.0
	v_fmac_f32_e32 v12, v14, v12
	v_div_scale_f32 v14, s1, v19, v16, v19
	v_fmac_f32_e32 v13, v21, v13
	v_mul_f32_e32 v21, v22, v12
	v_mul_f32_e32 v23, v14, v13
	v_fma_f32 v24, -v4, v21, v22
	v_fma_f32 v25, -v5, v23, v14
	v_fmac_f32_e32 v21, v24, v12
	v_fmac_f32_e32 v23, v25, v13
	v_fma_f32 v4, -v4, v21, v22
	v_fma_f32 v5, -v5, v23, v14
	v_div_fmas_f32 v4, v4, v12, v21
	s_mov_b32 vcc_lo, s1
	v_div_fmas_f32 v5, v5, v13, v23
	v_div_fixup_f32 v4, v4, v17, v20
	v_div_fixup_f32 v12, v5, v16, v19
	v_fma_f32 v5, v12, v4, 1.0
	v_div_scale_f32 v13, null, v5, v5, v18
	v_div_scale_f32 v14, null, v5, v5, v15
	v_div_scale_f32 v21, vcc_lo, v18, v5, v18
	v_rcp_f32_e32 v16, v13
	v_rcp_f32_e32 v17, v14
	v_fma_f32 v19, -v13, v16, 1.0
	v_fma_f32 v20, -v14, v17, 1.0
	v_fmac_f32_e32 v16, v19, v16
	v_div_scale_f32 v19, s1, v15, v5, v15
	v_fmac_f32_e32 v17, v20, v17
	v_mul_f32_e32 v20, v21, v16
	v_mul_f32_e32 v22, v19, v17
	v_fma_f32 v23, -v13, v20, v21
	v_fma_f32 v24, -v14, v22, v19
	v_fmac_f32_e32 v20, v23, v16
	v_fmac_f32_e32 v22, v24, v17
	v_fma_f32 v13, -v13, v20, v21
	v_fma_f32 v14, -v14, v22, v19
	v_div_fmas_f32 v13, v13, v16, v20
	s_mov_b32 vcc_lo, s1
	v_div_fmas_f32 v14, v14, v17, v22
	v_div_fixup_f32 v13, v13, v5, v18
	v_div_fixup_f32 v14, v14, v5, v15
	global_store_dword v[2:3], v14, off
	global_store_dword v[6:7], v13, off
	global_load_dword v10, v[10:11], off
	s_waitcnt vmcnt(0)
	v_mul_f32_e32 v5, v5, v10
	global_store_dword v[8:9], v5, off
.LBB0_11:
	s_or_saveexec_b32 s1, s3
	v_mov_b32_e32 v14, 1.0
	s_xor_b32 exec_lo, exec_lo, s1
	s_cbranch_execz .LBB0_13
; %bb.12:
	v_mov_b32_e32 v4, 0
	v_mov_b32_e32 v14, -1.0
	v_mov_b32_e32 v12, 0
	global_store_dword v[8:9], v4, off
	global_store_dword v[2:3], v4, off
	;; [unrolled: 1-line block ×3, first 2 shown]
.LBB0_13:
	s_or_b32 exec_lo, exec_lo, s1
                                        ; implicit-def: $vgpr19
                                        ; implicit-def: $vgpr16
                                        ; implicit-def: $vgpr20
                                        ; implicit-def: $vgpr17
                                        ; implicit-def: $vgpr15
.LBB0_14:
	s_or_saveexec_b32 s2, s2
	v_mov_b32_e32 v13, 0
	v_mov_b32_e32 v5, 0
	s_xor_b32 exec_lo, exec_lo, s2
	s_cbranch_execz .LBB0_18
; %bb.15:
	v_div_scale_f32 v4, null, v19, v19, -v16
	v_div_scale_f32 v5, null, v20, v20, v17
	v_div_scale_f32 v14, vcc_lo, -v16, v19, -v16
	v_rcp_f32_e32 v10, v4
	v_rcp_f32_e32 v11, v5
	v_fma_f32 v12, -v4, v10, 1.0
	v_fma_f32 v13, -v5, v11, 1.0
	v_fmac_f32_e32 v10, v12, v10
	v_div_scale_f32 v12, s1, v17, v20, v17
	v_fmac_f32_e32 v11, v13, v11
	v_mul_f32_e32 v13, v14, v10
	v_mul_f32_e32 v18, v12, v11
	v_fma_f32 v21, -v4, v13, v14
	v_fma_f32 v22, -v5, v18, v12
	v_fmac_f32_e32 v13, v21, v10
	v_fmac_f32_e32 v18, v22, v11
	v_fma_f32 v4, -v4, v13, v14
	v_mov_b32_e32 v14, -1.0
	v_fma_f32 v5, -v5, v18, v12
	v_div_fmas_f32 v4, v4, v10, v13
	s_mov_b32 vcc_lo, s1
	s_mov_b32 s1, exec_lo
	v_div_fmas_f32 v10, v5, v11, v18
	v_div_fixup_f32 v5, v4, v19, -v16
	v_div_fixup_f32 v13, v10, v20, v17
	v_fma_f32 v4, -v5, v13, 1.0
	v_cmpx_lt_f32_e32 0, v4
	s_cbranch_execz .LBB0_17
; %bb.16:
	v_div_scale_f32 v10, null, v4, v4, v15
	v_div_scale_f32 v14, vcc_lo, v15, v4, v15
	v_rcp_f32_e32 v11, v10
	v_fma_f32 v12, -v10, v11, 1.0
	v_fmac_f32_e32 v11, v12, v11
	v_mul_f32_e32 v12, v14, v11
	v_fma_f32 v16, -v10, v12, v14
	v_fmac_f32_e32 v12, v16, v11
	v_fma_f32 v10, -v10, v12, v14
	v_div_fmas_f32 v10, v10, v11, v12
	v_div_fixup_f32 v10, v10, v4, v15
	global_store_dword v[6:7], v10, off
	global_load_dword v10, v[2:3], off
	s_waitcnt vmcnt(0)
	v_div_scale_f32 v11, null, v4, v4, v10
	v_rcp_f32_e32 v12, v11
	v_fma_f32 v14, -v11, v12, 1.0
	v_fmac_f32_e32 v12, v14, v12
	v_div_scale_f32 v14, vcc_lo, v10, v4, v10
	v_mul_f32_e32 v15, v14, v12
	v_fma_f32 v16, -v11, v15, v14
	v_fmac_f32_e32 v15, v16, v12
	v_fma_f32 v11, -v11, v15, v14
	v_mov_b32_e32 v14, 0
	v_div_fmas_f32 v11, v11, v12, v15
	v_div_fixup_f32 v10, v11, v4, v10
	global_store_dword v[2:3], v10, off
	global_load_dword v10, v[8:9], off
	s_waitcnt vmcnt(0)
	v_mul_f32_e32 v4, v4, v10
	global_store_dword v[8:9], v4, off
.LBB0_17:
	s_or_b32 exec_lo, exec_lo, s1
	v_mov_b32_e32 v12, 0
	v_mov_b32_e32 v4, 0
.LBB0_18:
	s_or_b32 exec_lo, exec_lo, s2
	global_load_dword v10, v[6:7], off
	s_mov_b32 s3, exec_lo
	s_waitcnt vmcnt(0)
	v_cmpx_neq_f32_e32 0, v10
	s_cbranch_execz .LBB0_25
; %bb.19:
	v_cmp_ge_f32_e64 s1, 0x33800000, v10
	v_cmp_le_f32_e64 s2, 0x4b800000, v10
	v_cmp_nge_f32_e32 vcc_lo, 0x33800000, v10
	s_or_b32 s1, s1, s2
	s_and_saveexec_b32 s6, s1
	s_cbranch_execz .LBB0_24
; %bb.20:
	v_cndmask_b32_e64 v11, 24, 0xffffffe8, vcc_lo
	s_mov_b32 s7, 0
	v_ldexp_f32 v10, v10, v11
	global_store_dword v[6:7], v10, off
	global_load_dword v11, v[8:9], off
	v_mov_b32_e32 v10, 0x45800000
	v_cndmask_b32_e32 v15, 0x39800000, v10, vcc_lo
	v_cmp_eq_f32_e32 vcc_lo, 0, v14
	v_cndmask_b32_e32 v13, 1.0, v13, vcc_lo
	v_cndmask_b32_e64 v4, v4, 1.0, vcc_lo
	v_cndmask_b32_e32 v5, -1.0, v5, vcc_lo
	v_mul_f32_e32 v13, v13, v15
	v_mul_f32_e32 v4, v4, v15
	s_waitcnt vmcnt(0)
	v_mul_f32_e32 v11, v15, v11
	global_store_dword v[8:9], v11, off
	global_load_dword v11, v[6:7], off
	s_waitcnt vmcnt(0)
	v_cmp_ge_f32_e64 s1, 0x33800000, v11
	v_cmp_le_f32_e64 s2, 0x4b800000, v11
	v_cmp_nge_f32_e64 s8, 0x33800000, v11
	s_or_b32 s1, s1, s2
	s_and_saveexec_b32 s2, s1
	s_cbranch_execz .LBB0_23
	.p2align	6
.LBB0_21:                               ; =>This Inner Loop Header: Depth=1
	v_cndmask_b32_e64 v5, 24, 0xffffffe8, s8
	v_cndmask_b32_e64 v13, 0x39800000, v10, s8
	v_ldexp_f32 v5, v11, v5
	v_mul_f32_e32 v4, v13, v4
	global_store_dword v[6:7], v5, off
	global_load_dword v5, v[8:9], off
	s_waitcnt vmcnt(0)
	v_mul_f32_e32 v5, v13, v5
	global_store_dword v[8:9], v5, off
	global_load_dword v11, v[6:7], off
	s_waitcnt vmcnt(0)
	v_cmp_nge_f32_e64 s8, 0x33800000, v11
	v_cmp_nle_f32_e64 s1, 0x4b800000, v11
	s_and_b32 s1, s8, s1
	s_and_b32 s1, exec_lo, s1
	s_or_b32 s7, s1, s7
	s_andn2_b32 exec_lo, exec_lo, s7
	s_cbranch_execnz .LBB0_21
; %bb.22:
	s_or_b32 exec_lo, exec_lo, s7
	v_mov_b32_e32 v5, -1.0
.LBB0_23:
	s_or_b32 exec_lo, exec_lo, s2
	v_cndmask_b32_e64 v12, v12, 1.0, vcc_lo
	v_mov_b32_e32 v14, -1.0
.LBB0_24:
	s_or_b32 exec_lo, exec_lo, s6
.LBB0_25:
	s_or_b32 exec_lo, exec_lo, s3
	global_load_dword v6, v[2:3], off
	s_mov_b32 s6, exec_lo
	s_waitcnt vmcnt(0)
	v_cmpx_neq_f32_e32 0, v6
	s_cbranch_execz .LBB0_33
; %bb.26:
	v_cmp_gt_f32_e32 vcc_lo, 0, v6
	v_cndmask_b32_e64 v7, v6, -v6, vcc_lo
	v_cmp_ge_f32_e32 vcc_lo, 0x33800000, v7
	v_cmp_le_f32_e64 s2, 0x4b800000, v7
	v_cmp_nge_f32_e64 s1, 0x33800000, v7
	s_or_b32 s2, vcc_lo, s2
	s_and_saveexec_b32 s7, s2
	s_cbranch_execz .LBB0_32
; %bb.27:
	v_cndmask_b32_e64 v7, 24, 0xffffffe8, s1
	v_mov_b32_e32 v8, 0x45800000
	v_cmp_eq_f32_e32 vcc_lo, 0, v14
	v_ldexp_f32 v6, v6, v7
	v_cndmask_b32_e64 v8, 0x39800000, v8, s1
	v_cndmask_b32_e64 v7, v12, 1.0, vcc_lo
	v_cndmask_b32_e32 v5, -1.0, v5, vcc_lo
	v_cndmask_b32_e32 v13, 1.0, v13, vcc_lo
	v_cmp_gt_f32_e64 s1, 0, v6
	global_store_dword v[2:3], v6, off
	v_mul_f32_e32 v12, v7, v8
	v_mul_f32_e32 v5, v5, v8
	v_cndmask_b32_e64 v9, v6, -v6, s1
	v_cmp_ge_f32_e64 s2, 0x33800000, v9
	v_cmp_le_f32_e64 s3, 0x4b800000, v9
	v_cmp_nge_f32_e64 s1, 0x33800000, v9
	s_or_b32 s2, s2, s3
	s_and_saveexec_b32 s3, s2
	s_cbranch_execz .LBB0_31
; %bb.28:
	v_mov_b32_e32 v5, 0x33800000
	s_mov_b32 s8, 0
	s_and_b32 s10, s1, exec_lo
                                        ; implicit-def: $sgpr9
	.p2align	6
.LBB0_29:                               ; =>This Inner Loop Header: Depth=1
	v_cndmask_b32_e64 v7, 0x4b800000, v5, s10
	v_mul_f32_e32 v6, v7, v6
	v_cmp_gt_f32_e64 s1, 0, v6
	v_cndmask_b32_e64 v7, v6, -v6, s1
	v_cmp_nge_f32_e64 s1, 0x33800000, v7
	v_cmp_nle_f32_e64 s2, 0x4b800000, v7
	v_cndmask_b32_e64 v7, -12, 12, s10
	s_and_b32 s2, s1, s2
	v_ldexp_f32 v12, v12, v7
	s_and_b32 s2, exec_lo, s2
	s_or_b32 s8, s2, s8
	s_andn2_b32 s2, s10, exec_lo
	s_and_b32 s1, s1, exec_lo
	s_andn2_b32 s9, s9, exec_lo
	s_and_b32 s10, s10, exec_lo
	s_or_b32 s1, s2, s1
	s_or_b32 s9, s9, s10
	s_mov_b32 s10, s1
	s_andn2_b32 exec_lo, exec_lo, s8
	s_cbranch_execnz .LBB0_29
; %bb.30:
	s_or_b32 exec_lo, exec_lo, s8
	v_mov_b32_e32 v5, 0xc5800000
	v_mov_b32_e32 v13, 1.0
	global_store_dword v[2:3], v6, off
	v_cndmask_b32_e64 v5, 0xb9800000, v5, s9
.LBB0_31:
	s_or_b32 exec_lo, exec_lo, s3
	v_cndmask_b32_e64 v4, v4, 1.0, vcc_lo
	v_mov_b32_e32 v14, -1.0
.LBB0_32:
	s_or_b32 exec_lo, exec_lo, s7
.LBB0_33:
	s_or_b32 exec_lo, exec_lo, s6
.LBB0_34:
	s_or_b32 exec_lo, exec_lo, s5
	s_and_b32 s0, s0, exec_lo
                                        ; implicit-def: $vgpr8_vgpr9
                                        ; implicit-def: $vgpr2_vgpr3
                                        ; implicit-def: $vgpr6_vgpr7
	s_andn2_saveexec_b32 s1, s4
	s_cbranch_execz .LBB0_3
.LBB0_35:
	v_mov_b32_e32 v4, 0
	v_mov_b32_e32 v14, -1.0
	v_mov_b32_e32 v5, 0
	v_mov_b32_e32 v13, 0
	;; [unrolled: 1-line block ×3, first 2 shown]
	s_or_b32 s0, s0, exec_lo
	global_store_dword v[8:9], v4, off
	global_store_dword v[2:3], v4, off
	;; [unrolled: 1-line block ×3, first 2 shown]
	s_or_b32 exec_lo, exec_lo, s1
	s_and_b32 exec_lo, exec_lo, s0
	s_cbranch_execz .LBB0_4
.LBB0_36:
	s_mov_b32 s0, exec_lo
                                        ; implicit-def: $vgpr2_vgpr3
                                        ; implicit-def: $vgpr8
                                        ; implicit-def: $vgpr6_vgpr7
	v_cmpx_ngt_f32_e32 0, v14
	s_xor_b32 s0, exec_lo, s0
	s_cbranch_execz .LBB0_38
; %bb.37:
	v_cmp_eq_f32_e32 vcc_lo, 0, v14
	v_mov_b32_e32 v7, 0
	v_cndmask_b32_e64 v6, 4, 8, vcc_lo
	v_cndmask_b32_e32 v8, v4, v5, vcc_lo
	v_cndmask_b32_e64 v2, 16, 12, vcc_lo
	v_mov_b32_e32 v3, v7
	v_cndmask_b32_e32 v12, v12, v13, vcc_lo
                                        ; implicit-def: $vgpr4
                                        ; implicit-def: $vgpr13
.LBB0_38:
	s_andn2_saveexec_b32 s0, s0
	s_cbranch_execz .LBB0_40
; %bb.39:
	v_mov_b32_e32 v2, 16
	v_mov_b32_e32 v6, 12
	;; [unrolled: 1-line block ×5, first 2 shown]
	global_store_dwordx2 v[0:1], v[4:5], off offset:4
.LBB0_40:
	s_or_b32 exec_lo, exec_lo, s0
	v_add_co_u32 v4, vcc_lo, v0, v6
	v_add_co_ci_u32_e64 v5, null, v1, v7, vcc_lo
	v_add_co_u32 v2, vcc_lo, v0, v2
	v_add_co_ci_u32_e64 v3, null, v1, v3, vcc_lo
	global_store_dword v[4:5], v8, off
	global_store_dword v[2:3], v12, off
	;; [unrolled: 1-line block ×3, first 2 shown]
	s_endpgm
	.section	.rodata,"a",@progbits
	.p2align	6, 0x0
	.amdhsa_kernel _ZL20rocblas_rotmg_kernelILi32EPfPKfEvT0_llS3_llS3_llT1_llS3_lli
		.amdhsa_group_segment_fixed_size 0
		.amdhsa_private_segment_fixed_size 0
		.amdhsa_kernarg_size 124
		.amdhsa_user_sgpr_count 6
		.amdhsa_user_sgpr_private_segment_buffer 1
		.amdhsa_user_sgpr_dispatch_ptr 0
		.amdhsa_user_sgpr_queue_ptr 0
		.amdhsa_user_sgpr_kernarg_segment_ptr 1
		.amdhsa_user_sgpr_dispatch_id 0
		.amdhsa_user_sgpr_flat_scratch_init 0
		.amdhsa_user_sgpr_private_segment_size 0
		.amdhsa_wavefront_size32 1
		.amdhsa_uses_dynamic_stack 0
		.amdhsa_system_sgpr_private_segment_wavefront_offset 0
		.amdhsa_system_sgpr_workgroup_id_x 1
		.amdhsa_system_sgpr_workgroup_id_y 0
		.amdhsa_system_sgpr_workgroup_id_z 0
		.amdhsa_system_sgpr_workgroup_info 0
		.amdhsa_system_vgpr_workitem_id 0
		.amdhsa_next_free_vgpr 26
		.amdhsa_next_free_sgpr 32
		.amdhsa_reserve_vcc 1
		.amdhsa_reserve_flat_scratch 0
		.amdhsa_float_round_mode_32 0
		.amdhsa_float_round_mode_16_64 0
		.amdhsa_float_denorm_mode_32 3
		.amdhsa_float_denorm_mode_16_64 3
		.amdhsa_dx10_clamp 1
		.amdhsa_ieee_mode 1
		.amdhsa_fp16_overflow 0
		.amdhsa_workgroup_processor_mode 1
		.amdhsa_memory_ordered 1
		.amdhsa_forward_progress 1
		.amdhsa_shared_vgpr_count 0
		.amdhsa_exception_fp_ieee_invalid_op 0
		.amdhsa_exception_fp_denorm_src 0
		.amdhsa_exception_fp_ieee_div_zero 0
		.amdhsa_exception_fp_ieee_overflow 0
		.amdhsa_exception_fp_ieee_underflow 0
		.amdhsa_exception_fp_ieee_inexact 0
		.amdhsa_exception_int_div_zero 0
	.end_amdhsa_kernel
	.section	.text._ZL20rocblas_rotmg_kernelILi32EPfPKfEvT0_llS3_llS3_llT1_llS3_lli,"axG",@progbits,_ZL20rocblas_rotmg_kernelILi32EPfPKfEvT0_llS3_llS3_llT1_llS3_lli,comdat
.Lfunc_end0:
	.size	_ZL20rocblas_rotmg_kernelILi32EPfPKfEvT0_llS3_llS3_llT1_llS3_lli, .Lfunc_end0-_ZL20rocblas_rotmg_kernelILi32EPfPKfEvT0_llS3_llS3_llT1_llS3_lli
                                        ; -- End function
	.set _ZL20rocblas_rotmg_kernelILi32EPfPKfEvT0_llS3_llS3_llT1_llS3_lli.num_vgpr, 26
	.set _ZL20rocblas_rotmg_kernelILi32EPfPKfEvT0_llS3_llS3_llT1_llS3_lli.num_agpr, 0
	.set _ZL20rocblas_rotmg_kernelILi32EPfPKfEvT0_llS3_llS3_llT1_llS3_lli.numbered_sgpr, 32
	.set _ZL20rocblas_rotmg_kernelILi32EPfPKfEvT0_llS3_llS3_llT1_llS3_lli.num_named_barrier, 0
	.set _ZL20rocblas_rotmg_kernelILi32EPfPKfEvT0_llS3_llS3_llT1_llS3_lli.private_seg_size, 0
	.set _ZL20rocblas_rotmg_kernelILi32EPfPKfEvT0_llS3_llS3_llT1_llS3_lli.uses_vcc, 1
	.set _ZL20rocblas_rotmg_kernelILi32EPfPKfEvT0_llS3_llS3_llT1_llS3_lli.uses_flat_scratch, 0
	.set _ZL20rocblas_rotmg_kernelILi32EPfPKfEvT0_llS3_llS3_llT1_llS3_lli.has_dyn_sized_stack, 0
	.set _ZL20rocblas_rotmg_kernelILi32EPfPKfEvT0_llS3_llS3_llT1_llS3_lli.has_recursion, 0
	.set _ZL20rocblas_rotmg_kernelILi32EPfPKfEvT0_llS3_llS3_llT1_llS3_lli.has_indirect_call, 0
	.section	.AMDGPU.csdata,"",@progbits
; Kernel info:
; codeLenInByte = 2520
; TotalNumSgprs: 34
; NumVgprs: 26
; ScratchSize: 0
; MemoryBound: 0
; FloatMode: 240
; IeeeMode: 1
; LDSByteSize: 0 bytes/workgroup (compile time only)
; SGPRBlocks: 0
; VGPRBlocks: 3
; NumSGPRsForWavesPerEU: 34
; NumVGPRsForWavesPerEU: 26
; Occupancy: 16
; WaveLimiterHint : 0
; COMPUTE_PGM_RSRC2:SCRATCH_EN: 0
; COMPUTE_PGM_RSRC2:USER_SGPR: 6
; COMPUTE_PGM_RSRC2:TRAP_HANDLER: 0
; COMPUTE_PGM_RSRC2:TGID_X_EN: 1
; COMPUTE_PGM_RSRC2:TGID_Y_EN: 0
; COMPUTE_PGM_RSRC2:TGID_Z_EN: 0
; COMPUTE_PGM_RSRC2:TIDIG_COMP_CNT: 0
	.section	.text._ZL20rocblas_rotmg_kernelILi32EPdPKdEvT0_llS3_llS3_llT1_llS3_lli,"axG",@progbits,_ZL20rocblas_rotmg_kernelILi32EPdPKdEvT0_llS3_llS3_llT1_llS3_lli,comdat
	.globl	_ZL20rocblas_rotmg_kernelILi32EPdPKdEvT0_llS3_llS3_llT1_llS3_lli ; -- Begin function _ZL20rocblas_rotmg_kernelILi32EPdPKdEvT0_llS3_llS3_llT1_llS3_lli
	.p2align	8
	.type	_ZL20rocblas_rotmg_kernelILi32EPdPKdEvT0_llS3_llS3_llT1_llS3_lli,@function
_ZL20rocblas_rotmg_kernelILi32EPdPKdEvT0_llS3_llS3_llT1_llS3_lli: ; @_ZL20rocblas_rotmg_kernelILi32EPdPKdEvT0_llS3_llS3_llT1_llS3_lli
; %bb.0:
	s_load_dword s0, s[4:5], 0x78
	v_lshl_or_b32 v2, s6, 5, v0
	s_waitcnt lgkmcnt(0)
	v_cmp_gt_i32_e32 vcc_lo, s0, v2
	s_and_saveexec_b32 s0, vcc_lo
	s_cbranch_execz .LBB1_4
; %bb.1:
	s_load_dwordx16 s[8:23], s[4:5], 0x0
                                        ; implicit-def: $vgpr16_vgpr17
                                        ; implicit-def: $vgpr14_vgpr15
	s_waitcnt lgkmcnt(0)
	v_mad_u64_u32 v[0:1], null, s12, v2, 0
	s_lshl_b64 s[0:1], s[10:11], 3
	v_mad_u64_u32 v[3:4], null, s13, v2, v[1:2]
	v_mov_b32_e32 v1, v3
	v_lshlrev_b64 v[0:1], 3, v[0:1]
	v_add_co_u32 v0, vcc_lo, s8, v0
	v_add_co_ci_u32_e64 v1, null, s9, v1, vcc_lo
	v_add_co_u32 v10, vcc_lo, v0, s0
	v_add_co_ci_u32_e64 v11, null, s1, v1, vcc_lo
	v_mad_u64_u32 v[0:1], null, s18, v2, 0
	s_lshl_b64 s[0:1], s[16:17], 3
	global_load_dwordx2 v[18:19], v[10:11], off
	s_clause 0x1
	s_load_dwordx8 s[24:31], s[4:5], 0x40
	s_load_dwordx8 s[4:11], s[4:5], 0x60
	v_mad_u64_u32 v[5:6], null, s19, v2, v[1:2]
	s_waitcnt lgkmcnt(0)
	v_mad_u64_u32 v[3:4], null, s24, v2, 0
	v_mad_u64_u32 v[8:9], null, s8, v2, 0
	v_mov_b32_e32 v1, v4
	v_mov_b32_e32 v4, v9
	v_mad_u64_u32 v[6:7], null, s25, v2, v[1:2]
	v_mov_b32_e32 v1, v5
	v_mad_u64_u32 v[12:13], null, s9, v2, v[4:5]
	v_lshlrev_b64 v[0:1], 3, v[0:1]
	v_mov_b32_e32 v4, v6
	v_mov_b32_e32 v9, v12
	v_add_co_u32 v5, vcc_lo, s14, v0
	v_add_co_ci_u32_e64 v7, null, s15, v1, vcc_lo
	v_lshlrev_b64 v[0:1], 3, v[3:4]
	v_add_co_u32 v6, vcc_lo, v5, s0
	v_add_co_ci_u32_e64 v7, null, s1, v7, vcc_lo
	v_add_co_u32 v3, s0, s20, v0
	v_add_co_ci_u32_e64 v4, null, s21, v1, s0
	v_lshlrev_b64 v[0:1], 3, v[8:9]
	s_lshl_b64 s[0:1], s[22:23], 3
                                        ; implicit-def: $vgpr8_vgpr9
	v_add_co_u32 v12, s0, v3, s0
	v_add_co_ci_u32_e64 v13, null, s1, v4, s0
	v_add_co_u32 v0, s0, s4, v0
	v_add_co_ci_u32_e64 v1, null, s5, v1, s0
	s_lshl_b64 s[0:1], s[6:7], 3
	v_add_co_u32 v4, s0, v0, s0
	v_add_co_ci_u32_e64 v5, null, s1, v1, s0
	s_mov_b32 s0, 0
                                        ; implicit-def: $vgpr0_vgpr1
	s_mov_b32 s1, exec_lo
	s_waitcnt vmcnt(0)
	v_cmpx_ngt_f64_e32 0, v[18:19]
	s_xor_b32 s4, exec_lo, s1
	s_cbranch_execnz .LBB1_5
; %bb.2:
	s_andn2_saveexec_b32 s1, s4
	s_cbranch_execnz .LBB1_35
.LBB1_3:
	s_or_b32 exec_lo, exec_lo, s1
	s_and_b32 exec_lo, exec_lo, s0
	s_cbranch_execnz .LBB1_36
.LBB1_4:
	s_endpgm
.LBB1_5:
	v_mad_u64_u32 v[0:1], null, s30, v2, 0
	s_lshl_b64 s[0:1], s[28:29], 3
	v_mad_u64_u32 v[1:2], null, s31, v2, v[1:2]
	v_lshlrev_b64 v[0:1], 3, v[0:1]
	v_add_co_u32 v0, vcc_lo, s26, v0
	v_add_co_ci_u32_e64 v1, null, s27, v1, vcc_lo
	v_add_co_u32 v24, vcc_lo, v0, s0
	v_add_co_ci_u32_e64 v25, null, s1, v1, vcc_lo
	s_mov_b32 s1, exec_lo
	global_load_dwordx2 v[26:27], v[6:7], off
	global_load_dwordx2 v[20:21], v[24:25], off
	s_waitcnt vmcnt(0)
	v_mul_f64 v[22:23], v[26:27], v[20:21]
	v_cmp_neq_f64_e64 s0, 0, v[22:23]
	v_cmpx_eq_f64_e32 0, v[22:23]
	s_xor_b32 s1, exec_lo, s1
	s_cbranch_execz .LBB1_7
; %bb.6:
	v_mov_b32_e32 v0, 0
	v_mov_b32_e32 v1, -2.0
                                        ; implicit-def: $vgpr6_vgpr7
                                        ; implicit-def: $vgpr10_vgpr11
                                        ; implicit-def: $vgpr12_vgpr13
                                        ; implicit-def: $vgpr18_vgpr19
                                        ; implicit-def: $vgpr20_vgpr21
                                        ; implicit-def: $vgpr22_vgpr23
                                        ; implicit-def: $vgpr26_vgpr27
                                        ; implicit-def: $vgpr24_vgpr25
	global_store_dwordx2 v[4:5], v[0:1], off
.LBB1_7:
	s_or_saveexec_b32 s5, s1
	v_mov_b32_e32 v0, 0
	v_mov_b32_e32 v16, 0
	;; [unrolled: 1-line block ×6, first 2 shown]
	v_mov_b32_e32 v17, -2.0
	v_mov_b32_e32 v3, 0
	v_mov_b32_e32 v15, 0
	;; [unrolled: 1-line block ×3, first 2 shown]
	s_xor_b32 exec_lo, exec_lo, s5
	s_cbranch_execz .LBB1_34
; %bb.8:
	global_load_dwordx2 v[28:29], v[12:13], off
	v_mul_f64 v[2:3], v[20:21], v[22:23]
                                        ; implicit-def: $vgpr16_vgpr17
                                        ; implicit-def: $vgpr8_vgpr9
	s_waitcnt vmcnt(0)
	v_mul_f64 v[30:31], v[18:19], v[28:29]
	v_mul_f64 v[0:1], v[28:29], v[30:31]
	v_cmp_ngt_f64_e64 s1, |v[0:1]|, |v[2:3]|
                                        ; implicit-def: $vgpr0_vgpr1
	s_and_saveexec_b32 s2, s1
	s_xor_b32 s2, exec_lo, s2
	s_cbranch_execz .LBB1_14
; %bb.9:
                                        ; implicit-def: $vgpr0_vgpr1
                                        ; implicit-def: $vgpr8_vgpr9
	s_mov_b32 s1, exec_lo
	v_cmpx_ngt_f64_e32 0, v[2:3]
	s_xor_b32 s3, exec_lo, s1
	s_cbranch_execz .LBB1_11
; %bb.10:
	v_div_scale_f64 v[0:1], null, v[22:23], v[22:23], v[30:31]
	v_div_scale_f64 v[2:3], null, v[20:21], v[20:21], v[28:29]
	v_div_scale_f64 v[34:35], vcc_lo, v[30:31], v[22:23], v[30:31]
	v_rcp_f64_e32 v[8:9], v[0:1]
	v_rcp_f64_e32 v[14:15], v[2:3]
	v_fma_f64 v[16:17], -v[0:1], v[8:9], 1.0
	v_fma_f64 v[32:33], -v[2:3], v[14:15], 1.0
	v_fma_f64 v[8:9], v[8:9], v[16:17], v[8:9]
	v_fma_f64 v[14:15], v[14:15], v[32:33], v[14:15]
	v_fma_f64 v[16:17], -v[0:1], v[8:9], 1.0
	v_fma_f64 v[32:33], -v[2:3], v[14:15], 1.0
	v_fma_f64 v[8:9], v[8:9], v[16:17], v[8:9]
	v_div_scale_f64 v[16:17], s1, v[28:29], v[20:21], v[28:29]
	v_fma_f64 v[14:15], v[14:15], v[32:33], v[14:15]
	v_mul_f64 v[32:33], v[34:35], v[8:9]
	v_mul_f64 v[36:37], v[16:17], v[14:15]
	v_fma_f64 v[0:1], -v[0:1], v[32:33], v[34:35]
	v_fma_f64 v[2:3], -v[2:3], v[36:37], v[16:17]
	v_div_fmas_f64 v[0:1], v[0:1], v[8:9], v[32:33]
	s_mov_b32 vcc_lo, s1
	v_div_fmas_f64 v[2:3], v[2:3], v[14:15], v[36:37]
	v_div_fixup_f64 v[0:1], v[0:1], v[22:23], v[30:31]
	v_div_fixup_f64 v[8:9], v[2:3], v[20:21], v[28:29]
	v_fma_f64 v[2:3], v[8:9], v[0:1], 1.0
	v_div_scale_f64 v[14:15], null, v[2:3], v[2:3], v[26:27]
	v_div_scale_f64 v[16:17], null, v[2:3], v[2:3], v[18:19]
	v_div_scale_f64 v[32:33], vcc_lo, v[26:27], v[2:3], v[26:27]
	v_rcp_f64_e32 v[20:21], v[14:15]
	v_rcp_f64_e32 v[22:23], v[16:17]
	v_fma_f64 v[28:29], -v[14:15], v[20:21], 1.0
	v_fma_f64 v[30:31], -v[16:17], v[22:23], 1.0
	v_fma_f64 v[20:21], v[20:21], v[28:29], v[20:21]
	v_fma_f64 v[22:23], v[22:23], v[30:31], v[22:23]
	v_fma_f64 v[28:29], -v[14:15], v[20:21], 1.0
	v_fma_f64 v[30:31], -v[16:17], v[22:23], 1.0
	v_fma_f64 v[20:21], v[20:21], v[28:29], v[20:21]
	v_div_scale_f64 v[28:29], s1, v[18:19], v[2:3], v[18:19]
	v_fma_f64 v[22:23], v[22:23], v[30:31], v[22:23]
	v_mul_f64 v[30:31], v[32:33], v[20:21]
	v_mul_f64 v[34:35], v[28:29], v[22:23]
	v_fma_f64 v[14:15], -v[14:15], v[30:31], v[32:33]
	v_fma_f64 v[16:17], -v[16:17], v[34:35], v[28:29]
	v_div_fmas_f64 v[14:15], v[14:15], v[20:21], v[30:31]
	s_mov_b32 vcc_lo, s1
	v_div_fmas_f64 v[16:17], v[16:17], v[22:23], v[34:35]
	v_div_fixup_f64 v[14:15], v[14:15], v[2:3], v[26:27]
	v_div_fixup_f64 v[16:17], v[16:17], v[2:3], v[18:19]
	global_store_dwordx2 v[6:7], v[16:17], off
	global_store_dwordx2 v[10:11], v[14:15], off
	global_load_dwordx2 v[14:15], v[24:25], off
	s_waitcnt vmcnt(0)
	v_mul_f64 v[2:3], v[2:3], v[14:15]
	global_store_dwordx2 v[12:13], v[2:3], off
.LBB1_11:
	s_or_saveexec_b32 s1, s3
	v_mov_b32_e32 v16, 0
	v_mov_b32_e32 v17, 0x3ff00000
	s_xor_b32 exec_lo, exec_lo, s1
	s_cbranch_execz .LBB1_13
; %bb.12:
	s_mov_b32 s6, 0
	v_mov_b32_e32 v0, 0
	s_mov_b32 s7, s6
	v_mov_b32_e32 v2, s6
	v_mov_b32_e32 v16, 0
	;; [unrolled: 1-line block ×7, first 2 shown]
	global_store_dwordx2 v[12:13], v[2:3], off
	global_store_dwordx2 v[6:7], v[2:3], off
	;; [unrolled: 1-line block ×3, first 2 shown]
.LBB1_13:
	s_or_b32 exec_lo, exec_lo, s1
                                        ; implicit-def: $vgpr28_vgpr29
                                        ; implicit-def: $vgpr20_vgpr21
                                        ; implicit-def: $vgpr30_vgpr31
                                        ; implicit-def: $vgpr22_vgpr23
                                        ; implicit-def: $vgpr18_vgpr19
.LBB1_14:
	s_or_saveexec_b32 s2, s2
	v_mov_b32_e32 v14, 0
	v_mov_b32_e32 v2, 0
	;; [unrolled: 1-line block ×4, first 2 shown]
	s_xor_b32 exec_lo, exec_lo, s2
	s_cbranch_execz .LBB1_18
; %bb.15:
	v_div_scale_f64 v[0:1], null, v[28:29], v[28:29], -v[20:21]
	v_div_scale_f64 v[2:3], null, v[30:31], v[30:31], v[22:23]
	v_div_scale_f64 v[26:27], vcc_lo, -v[20:21], v[28:29], -v[20:21]
	v_rcp_f64_e32 v[8:9], v[0:1]
	v_rcp_f64_e32 v[14:15], v[2:3]
	v_fma_f64 v[16:17], -v[0:1], v[8:9], 1.0
	v_fma_f64 v[24:25], -v[2:3], v[14:15], 1.0
	v_fma_f64 v[8:9], v[8:9], v[16:17], v[8:9]
	v_fma_f64 v[14:15], v[14:15], v[24:25], v[14:15]
	v_fma_f64 v[16:17], -v[0:1], v[8:9], 1.0
	v_fma_f64 v[24:25], -v[2:3], v[14:15], 1.0
	v_fma_f64 v[8:9], v[8:9], v[16:17], v[8:9]
	v_div_scale_f64 v[16:17], s1, v[22:23], v[30:31], v[22:23]
	v_fma_f64 v[14:15], v[14:15], v[24:25], v[14:15]
	v_mul_f64 v[24:25], v[26:27], v[8:9]
	v_mul_f64 v[32:33], v[16:17], v[14:15]
	v_fma_f64 v[0:1], -v[0:1], v[24:25], v[26:27]
	v_fma_f64 v[2:3], -v[2:3], v[32:33], v[16:17]
	v_mov_b32_e32 v16, 0
	v_mov_b32_e32 v17, 0xbff00000
	v_div_fmas_f64 v[0:1], v[0:1], v[8:9], v[24:25]
	s_mov_b32 vcc_lo, s1
	s_mov_b32 s1, exec_lo
	v_div_fmas_f64 v[8:9], v[2:3], v[14:15], v[32:33]
	v_div_fixup_f64 v[2:3], v[0:1], v[28:29], -v[20:21]
	v_div_fixup_f64 v[14:15], v[8:9], v[30:31], v[22:23]
	v_fma_f64 v[0:1], -v[2:3], v[14:15], 1.0
	v_cmpx_lt_f64_e32 0, v[0:1]
	s_cbranch_execz .LBB1_17
; %bb.16:
	v_div_scale_f64 v[8:9], null, v[0:1], v[0:1], v[18:19]
	v_div_scale_f64 v[22:23], vcc_lo, v[18:19], v[0:1], v[18:19]
	v_rcp_f64_e32 v[16:17], v[8:9]
	v_fma_f64 v[20:21], -v[8:9], v[16:17], 1.0
	v_fma_f64 v[16:17], v[16:17], v[20:21], v[16:17]
	v_fma_f64 v[20:21], -v[8:9], v[16:17], 1.0
	v_fma_f64 v[16:17], v[16:17], v[20:21], v[16:17]
	v_mul_f64 v[20:21], v[22:23], v[16:17]
	v_fma_f64 v[8:9], -v[8:9], v[20:21], v[22:23]
	v_div_fmas_f64 v[8:9], v[8:9], v[16:17], v[20:21]
	v_div_fixup_f64 v[8:9], v[8:9], v[0:1], v[18:19]
	global_store_dwordx2 v[10:11], v[8:9], off
	global_load_dwordx2 v[8:9], v[6:7], off
	s_waitcnt vmcnt(0)
	v_div_scale_f64 v[16:17], null, v[0:1], v[0:1], v[8:9]
	v_rcp_f64_e32 v[18:19], v[16:17]
	v_fma_f64 v[20:21], -v[16:17], v[18:19], 1.0
	v_fma_f64 v[18:19], v[18:19], v[20:21], v[18:19]
	v_fma_f64 v[20:21], -v[16:17], v[18:19], 1.0
	v_fma_f64 v[18:19], v[18:19], v[20:21], v[18:19]
	v_div_scale_f64 v[20:21], vcc_lo, v[8:9], v[0:1], v[8:9]
	v_mul_f64 v[22:23], v[20:21], v[18:19]
	v_fma_f64 v[16:17], -v[16:17], v[22:23], v[20:21]
	v_div_fmas_f64 v[16:17], v[16:17], v[18:19], v[22:23]
	v_div_fixup_f64 v[8:9], v[16:17], v[0:1], v[8:9]
	v_mov_b32_e32 v16, 0
	v_mov_b32_e32 v17, 0
	global_store_dwordx2 v[6:7], v[8:9], off
	global_load_dwordx2 v[8:9], v[12:13], off
	s_waitcnt vmcnt(0)
	v_mul_f64 v[0:1], v[0:1], v[8:9]
	global_store_dwordx2 v[12:13], v[0:1], off
.LBB1_17:
	s_or_b32 exec_lo, exec_lo, s1
	v_mov_b32_e32 v8, 0
	v_mov_b32_e32 v0, 0
	;; [unrolled: 1-line block ×4, first 2 shown]
.LBB1_18:
	s_or_b32 exec_lo, exec_lo, s2
	global_load_dwordx2 v[18:19], v[10:11], off
	s_mov_b32 s3, exec_lo
	s_waitcnt vmcnt(0)
	v_cmpx_neq_f64_e32 0, v[18:19]
	s_cbranch_execz .LBB1_25
; %bb.19:
	v_cmp_ge_f64_e64 s1, 0x3e700000, v[18:19]
	v_cmp_le_f64_e64 s2, 0x41700000, v[18:19]
	v_cmp_nge_f64_e32 vcc_lo, 0x3e700000, v[18:19]
	s_or_b32 s1, s1, s2
	s_and_saveexec_b32 s6, s1
	s_cbranch_execz .LBB1_24
; %bb.20:
	v_cndmask_b32_e64 v20, 24, 0xffffffe8, vcc_lo
	v_mov_b32_e32 v22, 0x40b00000
	s_mov_b32 s7, 0
	v_ldexp_f64 v[18:19], v[18:19], v20
	global_store_dwordx2 v[10:11], v[18:19], off
	global_load_dwordx2 v[20:21], v[12:13], off
	v_mov_b32_e32 v18, 0
	v_cndmask_b32_e32 v19, 0x3f300000, v22, vcc_lo
	v_cmp_eq_f64_e32 vcc_lo, 0, v[16:17]
	v_cndmask_b32_e64 v1, v1, 0x3ff00000, vcc_lo
	v_cndmask_b32_e64 v0, v0, 0, vcc_lo
	v_cndmask_b32_e32 v15, 0x3ff00000, v15, vcc_lo
	v_cndmask_b32_e32 v14, 0, v14, vcc_lo
	v_cndmask_b32_e64 v9, v9, 0x3ff00000, vcc_lo
	v_cndmask_b32_e64 v8, v8, 0, vcc_lo
	v_mul_f64 v[0:1], v[0:1], v[18:19]
	v_cndmask_b32_e32 v3, 0xbff00000, v3, vcc_lo
	v_mul_f64 v[14:15], v[14:15], v[18:19]
	v_cndmask_b32_e32 v2, 0, v2, vcc_lo
	s_waitcnt vmcnt(0)
	v_mul_f64 v[20:21], v[18:19], v[20:21]
	global_store_dwordx2 v[12:13], v[20:21], off
	global_load_dwordx2 v[20:21], v[10:11], off
	s_waitcnt vmcnt(0)
	v_cmp_ge_f64_e64 s1, 0x3e700000, v[20:21]
	v_cmp_le_f64_e64 s2, 0x41700000, v[20:21]
	v_cmp_nge_f64_e64 s8, 0x3e700000, v[20:21]
	s_or_b32 s2, s1, s2
	s_and_saveexec_b32 s1, s2
	s_cbranch_execz .LBB1_23
	.p2align	6
.LBB1_21:                               ; =>This Inner Loop Header: Depth=1
	v_cndmask_b32_e64 v2, 24, 0xffffffe8, s8
	v_cndmask_b32_e64 v19, 0x3f300000, v22, s8
	v_ldexp_f64 v[2:3], v[20:21], v2
	v_mul_f64 v[0:1], v[18:19], v[0:1]
	global_store_dwordx2 v[10:11], v[2:3], off
	global_load_dwordx2 v[2:3], v[12:13], off
	s_waitcnt vmcnt(0)
	v_mul_f64 v[2:3], v[18:19], v[2:3]
	global_store_dwordx2 v[12:13], v[2:3], off
	global_load_dwordx2 v[20:21], v[10:11], off
	s_waitcnt vmcnt(0)
	v_cmp_nge_f64_e64 s8, 0x3e700000, v[20:21]
	v_cmp_nle_f64_e32 vcc_lo, 0x41700000, v[20:21]
	s_and_b32 s2, s8, vcc_lo
	s_and_b32 s2, exec_lo, s2
	s_or_b32 s7, s2, s7
	s_andn2_b32 exec_lo, exec_lo, s7
	s_cbranch_execnz .LBB1_21
; %bb.22:
	s_or_b32 exec_lo, exec_lo, s7
	v_mov_b32_e32 v2, 0
	v_mov_b32_e32 v14, v18
	;; [unrolled: 1-line block ×4, first 2 shown]
.LBB1_23:
	s_or_b32 exec_lo, exec_lo, s1
	v_mov_b32_e32 v16, 0
	v_mov_b32_e32 v17, 0xbff00000
.LBB1_24:
	s_or_b32 exec_lo, exec_lo, s6
.LBB1_25:
	s_or_b32 exec_lo, exec_lo, s3
	global_load_dwordx2 v[10:11], v[6:7], off
	s_mov_b32 s6, exec_lo
	s_waitcnt vmcnt(0)
	v_cmpx_neq_f64_e32 0, v[10:11]
	s_cbranch_execz .LBB1_33
; %bb.26:
	v_cmp_gt_f64_e32 vcc_lo, 0, v[10:11]
	v_xor_b32_e32 v13, 0x80000000, v11
	v_mov_b32_e32 v12, v10
	v_cndmask_b32_e32 v13, v11, v13, vcc_lo
	v_cmp_ge_f64_e64 s1, 0x3e700000, v[12:13]
	v_cmp_le_f64_e64 s2, 0x41700000, v[12:13]
	v_cmp_nge_f64_e32 vcc_lo, 0x3e700000, v[12:13]
	s_or_b32 s1, s1, s2
	s_and_saveexec_b32 s7, s1
	s_cbranch_execz .LBB1_32
; %bb.27:
	v_cndmask_b32_e64 v12, 24, 0xffffffe8, vcc_lo
	v_mov_b32_e32 v13, 0x40b00000
	v_cmp_eq_f64_e64 s1, 0, v[16:17]
	s_mov_b32 s8, 0
	v_ldexp_f64 v[10:11], v[10:11], v12
	v_cndmask_b32_e32 v13, 0x3f300000, v13, vcc_lo
	v_mov_b32_e32 v12, 0
	v_cndmask_b32_e64 v9, v9, 0x3ff00000, s1
	v_cndmask_b32_e64 v3, 0xbff00000, v3, s1
	;; [unrolled: 1-line block ×3, first 2 shown]
	v_cmp_gt_f64_e32 vcc_lo, 0, v[10:11]
	v_xor_b32_e32 v17, 0x80000000, v11
	v_mov_b32_e32 v16, v10
	v_cndmask_b32_e64 v8, v8, 0, s1
	v_mul_f64 v[2:3], v[2:3], v[12:13]
	v_cndmask_b32_e64 v15, 0x3ff00000, v15, s1
	v_cndmask_b32_e64 v14, 0, v14, s1
	;; [unrolled: 1-line block ×3, first 2 shown]
	v_mul_f64 v[8:9], v[8:9], v[12:13]
	v_cndmask_b32_e64 v0, v0, 0, s1
	global_store_dwordx2 v[6:7], v[10:11], off
	v_cndmask_b32_e32 v17, v11, v17, vcc_lo
	v_cmp_ge_f64_e64 s2, 0x3e700000, v[16:17]
	v_cmp_le_f64_e64 s3, 0x41700000, v[16:17]
	v_cmp_nge_f64_e32 vcc_lo, 0x3e700000, v[16:17]
	s_or_b32 s1, s2, s3
	s_and_saveexec_b32 s2, s1
	s_cbranch_execz .LBB1_31
; %bb.28:
	v_mov_b32_e32 v2, 0x3e700000
	s_and_b32 s9, vcc_lo, exec_lo
                                        ; implicit-def: $sgpr3
	.p2align	6
.LBB1_29:                               ; =>This Inner Loop Header: Depth=1
	v_cndmask_b32_e64 v13, 0x41700000, v2, s9
	v_mul_f64 v[10:11], v[12:13], v[10:11]
	v_cmp_gt_f64_e32 vcc_lo, 0, v[10:11]
	v_xor_b32_e32 v3, 0x80000000, v11
	v_mov_b32_e32 v13, v10
	v_cndmask_b32_e32 v14, v11, v3, vcc_lo
	v_cndmask_b32_e64 v3, -12, 12, s9
	v_cmp_nge_f64_e32 vcc_lo, 0x3e700000, v[13:14]
	v_cmp_nle_f64_e64 s1, 0x41700000, v[13:14]
	v_ldexp_f64 v[8:9], v[8:9], v3
	s_and_b32 s1, vcc_lo, s1
	s_and_b32 s1, exec_lo, s1
	s_or_b32 s8, s1, s8
	s_andn2_b32 s1, s9, exec_lo
	s_and_b32 s10, vcc_lo, exec_lo
	s_andn2_b32 s3, s3, exec_lo
	s_and_b32 s9, s9, exec_lo
	s_or_b32 s1, s1, s10
	s_or_b32 s3, s3, s9
	s_mov_b32 s9, s1
	s_andn2_b32 exec_lo, exec_lo, s8
	s_cbranch_execnz .LBB1_29
; %bb.30:
	s_or_b32 exec_lo, exec_lo, s8
	v_mov_b32_e32 v2, 0xc0b00000
	v_mov_b32_e32 v14, 0
	;; [unrolled: 1-line block ×3, first 2 shown]
	global_store_dwordx2 v[6:7], v[10:11], off
	v_cndmask_b32_e64 v3, 0xbf300000, v2, s3
	v_mov_b32_e32 v2, 0
.LBB1_31:
	s_or_b32 exec_lo, exec_lo, s2
	v_mov_b32_e32 v16, 0
	v_mov_b32_e32 v17, 0xbff00000
.LBB1_32:
	s_or_b32 exec_lo, exec_lo, s7
.LBB1_33:
	s_or_b32 exec_lo, exec_lo, s6
.LBB1_34:
	s_or_b32 exec_lo, exec_lo, s5
	s_and_b32 s0, s0, exec_lo
                                        ; implicit-def: $vgpr12_vgpr13
                                        ; implicit-def: $vgpr6_vgpr7
                                        ; implicit-def: $vgpr10_vgpr11
	s_andn2_saveexec_b32 s1, s4
	s_cbranch_execz .LBB1_3
.LBB1_35:
	s_mov_b32 s2, 0
	v_mov_b32_e32 v0, 0
	s_mov_b32 s3, s2
	v_mov_b32_e32 v16, 0
	v_mov_b32_e32 v19, s3
	v_mov_b32_e32 v2, 0
	v_mov_b32_e32 v14, 0
	v_mov_b32_e32 v8, 0
	v_mov_b32_e32 v1, 0
	v_mov_b32_e32 v17, 0xbff00000
	v_mov_b32_e32 v18, s2
	v_mov_b32_e32 v3, 0
	v_mov_b32_e32 v15, 0
	v_mov_b32_e32 v9, 0
	s_or_b32 s0, s0, exec_lo
	global_store_dwordx2 v[12:13], v[18:19], off
	global_store_dwordx2 v[6:7], v[18:19], off
	;; [unrolled: 1-line block ×3, first 2 shown]
	s_or_b32 exec_lo, exec_lo, s1
	s_and_b32 exec_lo, exec_lo, s0
	s_cbranch_execz .LBB1_4
.LBB1_36:
	s_mov_b32 s0, exec_lo
                                        ; implicit-def: $vgpr10_vgpr11
                                        ; implicit-def: $vgpr12_vgpr13
                                        ; implicit-def: $vgpr6_vgpr7
	v_cmpx_ngt_f64_e32 0, v[16:17]
	s_xor_b32 s0, exec_lo, s0
	s_cbranch_execz .LBB1_38
; %bb.37:
	v_cmp_eq_f64_e32 vcc_lo, 0, v[16:17]
	v_mov_b32_e32 v7, 0
	v_mov_b32_e32 v11, v7
	v_cndmask_b32_e64 v6, 8, 16, vcc_lo
	v_cndmask_b32_e32 v13, v1, v3, vcc_lo
	v_cndmask_b32_e32 v12, v0, v2, vcc_lo
	v_cndmask_b32_e64 v10, 32, 24, vcc_lo
	v_cndmask_b32_e32 v9, v9, v15, vcc_lo
	v_cndmask_b32_e32 v8, v8, v14, vcc_lo
                                        ; implicit-def: $vgpr0_vgpr1
                                        ; implicit-def: $vgpr14_vgpr15
.LBB1_38:
	s_andn2_saveexec_b32 s0, s0
	s_cbranch_execz .LBB1_40
; %bb.39:
	v_mov_b32_e32 v10, 32
	v_mov_b32_e32 v6, 24
	;; [unrolled: 1-line block ×6, first 2 shown]
	global_store_dwordx4 v[4:5], v[0:3], off offset:8
.LBB1_40:
	s_or_b32 exec_lo, exec_lo, s0
	v_add_co_u32 v0, vcc_lo, v4, v6
	v_add_co_ci_u32_e64 v1, null, v5, v7, vcc_lo
	v_add_co_u32 v2, vcc_lo, v4, v10
	v_add_co_ci_u32_e64 v3, null, v5, v11, vcc_lo
	global_store_dwordx2 v[0:1], v[12:13], off
	global_store_dwordx2 v[2:3], v[8:9], off
	;; [unrolled: 1-line block ×3, first 2 shown]
	s_endpgm
	.section	.rodata,"a",@progbits
	.p2align	6, 0x0
	.amdhsa_kernel _ZL20rocblas_rotmg_kernelILi32EPdPKdEvT0_llS3_llS3_llT1_llS3_lli
		.amdhsa_group_segment_fixed_size 0
		.amdhsa_private_segment_fixed_size 0
		.amdhsa_kernarg_size 124
		.amdhsa_user_sgpr_count 6
		.amdhsa_user_sgpr_private_segment_buffer 1
		.amdhsa_user_sgpr_dispatch_ptr 0
		.amdhsa_user_sgpr_queue_ptr 0
		.amdhsa_user_sgpr_kernarg_segment_ptr 1
		.amdhsa_user_sgpr_dispatch_id 0
		.amdhsa_user_sgpr_flat_scratch_init 0
		.amdhsa_user_sgpr_private_segment_size 0
		.amdhsa_wavefront_size32 1
		.amdhsa_uses_dynamic_stack 0
		.amdhsa_system_sgpr_private_segment_wavefront_offset 0
		.amdhsa_system_sgpr_workgroup_id_x 1
		.amdhsa_system_sgpr_workgroup_id_y 0
		.amdhsa_system_sgpr_workgroup_id_z 0
		.amdhsa_system_sgpr_workgroup_info 0
		.amdhsa_system_vgpr_workitem_id 0
		.amdhsa_next_free_vgpr 38
		.amdhsa_next_free_sgpr 32
		.amdhsa_reserve_vcc 1
		.amdhsa_reserve_flat_scratch 0
		.amdhsa_float_round_mode_32 0
		.amdhsa_float_round_mode_16_64 0
		.amdhsa_float_denorm_mode_32 3
		.amdhsa_float_denorm_mode_16_64 3
		.amdhsa_dx10_clamp 1
		.amdhsa_ieee_mode 1
		.amdhsa_fp16_overflow 0
		.amdhsa_workgroup_processor_mode 1
		.amdhsa_memory_ordered 1
		.amdhsa_forward_progress 1
		.amdhsa_shared_vgpr_count 0
		.amdhsa_exception_fp_ieee_invalid_op 0
		.amdhsa_exception_fp_denorm_src 0
		.amdhsa_exception_fp_ieee_div_zero 0
		.amdhsa_exception_fp_ieee_overflow 0
		.amdhsa_exception_fp_ieee_underflow 0
		.amdhsa_exception_fp_ieee_inexact 0
		.amdhsa_exception_int_div_zero 0
	.end_amdhsa_kernel
	.section	.text._ZL20rocblas_rotmg_kernelILi32EPdPKdEvT0_llS3_llS3_llT1_llS3_lli,"axG",@progbits,_ZL20rocblas_rotmg_kernelILi32EPdPKdEvT0_llS3_llS3_llT1_llS3_lli,comdat
.Lfunc_end1:
	.size	_ZL20rocblas_rotmg_kernelILi32EPdPKdEvT0_llS3_llS3_llT1_llS3_lli, .Lfunc_end1-_ZL20rocblas_rotmg_kernelILi32EPdPKdEvT0_llS3_llS3_llT1_llS3_lli
                                        ; -- End function
	.set _ZL20rocblas_rotmg_kernelILi32EPdPKdEvT0_llS3_llS3_llT1_llS3_lli.num_vgpr, 38
	.set _ZL20rocblas_rotmg_kernelILi32EPdPKdEvT0_llS3_llS3_llT1_llS3_lli.num_agpr, 0
	.set _ZL20rocblas_rotmg_kernelILi32EPdPKdEvT0_llS3_llS3_llT1_llS3_lli.numbered_sgpr, 32
	.set _ZL20rocblas_rotmg_kernelILi32EPdPKdEvT0_llS3_llS3_llT1_llS3_lli.num_named_barrier, 0
	.set _ZL20rocblas_rotmg_kernelILi32EPdPKdEvT0_llS3_llS3_llT1_llS3_lli.private_seg_size, 0
	.set _ZL20rocblas_rotmg_kernelILi32EPdPKdEvT0_llS3_llS3_llT1_llS3_lli.uses_vcc, 1
	.set _ZL20rocblas_rotmg_kernelILi32EPdPKdEvT0_llS3_llS3_llT1_llS3_lli.uses_flat_scratch, 0
	.set _ZL20rocblas_rotmg_kernelILi32EPdPKdEvT0_llS3_llS3_llT1_llS3_lli.has_dyn_sized_stack, 0
	.set _ZL20rocblas_rotmg_kernelILi32EPdPKdEvT0_llS3_llS3_llT1_llS3_lli.has_recursion, 0
	.set _ZL20rocblas_rotmg_kernelILi32EPdPKdEvT0_llS3_llS3_llT1_llS3_lli.has_indirect_call, 0
	.section	.AMDGPU.csdata,"",@progbits
; Kernel info:
; codeLenInByte = 2908
; TotalNumSgprs: 34
; NumVgprs: 38
; ScratchSize: 0
; MemoryBound: 0
; FloatMode: 240
; IeeeMode: 1
; LDSByteSize: 0 bytes/workgroup (compile time only)
; SGPRBlocks: 0
; VGPRBlocks: 4
; NumSGPRsForWavesPerEU: 34
; NumVGPRsForWavesPerEU: 38
; Occupancy: 16
; WaveLimiterHint : 0
; COMPUTE_PGM_RSRC2:SCRATCH_EN: 0
; COMPUTE_PGM_RSRC2:USER_SGPR: 6
; COMPUTE_PGM_RSRC2:TRAP_HANDLER: 0
; COMPUTE_PGM_RSRC2:TGID_X_EN: 1
; COMPUTE_PGM_RSRC2:TGID_Y_EN: 0
; COMPUTE_PGM_RSRC2:TGID_Z_EN: 0
; COMPUTE_PGM_RSRC2:TIDIG_COMP_CNT: 0
	.section	.text._ZL20rocblas_rotmg_kernelILi32EPKPfPKPKfEvT0_llS7_llS7_llT1_llS7_lli,"axG",@progbits,_ZL20rocblas_rotmg_kernelILi32EPKPfPKPKfEvT0_llS7_llS7_llT1_llS7_lli,comdat
	.globl	_ZL20rocblas_rotmg_kernelILi32EPKPfPKPKfEvT0_llS7_llS7_llT1_llS7_lli ; -- Begin function _ZL20rocblas_rotmg_kernelILi32EPKPfPKPKfEvT0_llS7_llS7_llT1_llS7_lli
	.p2align	8
	.type	_ZL20rocblas_rotmg_kernelILi32EPKPfPKPKfEvT0_llS7_llS7_llT1_llS7_lli,@function
_ZL20rocblas_rotmg_kernelILi32EPKPfPKPKfEvT0_llS7_llS7_llT1_llS7_lli: ; @_ZL20rocblas_rotmg_kernelILi32EPKPfPKPKfEvT0_llS7_llS7_llT1_llS7_lli
; %bb.0:
	s_load_dword s0, s[4:5], 0x78
	v_lshl_or_b32 v0, s6, 5, v0
	s_waitcnt lgkmcnt(0)
	v_cmp_gt_i32_e32 vcc_lo, s0, v0
	s_and_saveexec_b32 s0, vcc_lo
	s_cbranch_execz .LBB2_4
; %bb.1:
	s_clause 0x1
	s_load_dwordx4 s[0:3], s[4:5], 0x0
	s_load_dwordx4 s[8:11], s[4:5], 0x18
	v_mov_b32_e32 v1, 0
                                        ; implicit-def: $vgpr14
                                        ; implicit-def: $vgpr13
                                        ; implicit-def: $vgpr12
	v_lshlrev_b64 v[10:11], 3, v[0:1]
	s_waitcnt lgkmcnt(0)
	v_add_co_u32 v0, vcc_lo, s0, v10
	v_add_co_ci_u32_e64 v1, null, s1, v11, vcc_lo
	v_add_co_u32 v2, vcc_lo, s8, v10
	v_add_co_ci_u32_e64 v3, null, s9, v11, vcc_lo
	global_load_dwordx2 v[0:1], v[0:1], off
	s_clause 0x1
	s_load_dwordx4 s[12:15], s[4:5], 0x30
	s_load_dwordx4 s[16:19], s[4:5], 0x60
	s_lshl_b64 s[0:1], s[2:3], 2
	global_load_dwordx2 v[2:3], v[2:3], off
	s_waitcnt lgkmcnt(0)
	v_add_co_u32 v4, vcc_lo, s12, v10
	v_add_co_ci_u32_e64 v5, null, s13, v11, vcc_lo
	v_add_co_u32 v8, vcc_lo, s16, v10
	v_add_co_ci_u32_e64 v9, null, s17, v11, vcc_lo
	global_load_dwordx2 v[4:5], v[4:5], off
	s_waitcnt vmcnt(2)
	v_add_co_u32 v6, vcc_lo, v0, s0
	v_add_co_ci_u32_e64 v7, null, s1, v1, vcc_lo
	s_lshl_b64 s[0:1], s[10:11], 2
	global_load_dwordx2 v[0:1], v[8:9], off
	flat_load_dword v15, v[6:7]
	s_waitcnt vmcnt(3)
	v_add_co_u32 v2, vcc_lo, v2, s0
	v_add_co_ci_u32_e64 v3, null, s1, v3, vcc_lo
	s_lshl_b64 s[0:1], s[14:15], 2
	s_waitcnt vmcnt(2)
	v_add_co_u32 v8, vcc_lo, v4, s0
	v_add_co_ci_u32_e64 v9, null, s1, v5, vcc_lo
	s_lshl_b64 s[0:1], s[18:19], 2
                                        ; implicit-def: $vgpr4
	s_waitcnt vmcnt(1)
	v_add_co_u32 v0, vcc_lo, v0, s0
	v_add_co_ci_u32_e64 v1, null, s1, v1, vcc_lo
	s_mov_b32 s0, 0
	s_mov_b32 s1, exec_lo
	s_waitcnt vmcnt(0) lgkmcnt(0)
	v_cmpx_ngt_f32_e32 0, v15
	s_xor_b32 s6, exec_lo, s1
	s_cbranch_execnz .LBB2_5
; %bb.2:
	s_andn2_saveexec_b32 s1, s6
	s_cbranch_execnz .LBB2_35
.LBB2_3:
	s_or_b32 exec_lo, exec_lo, s1
	s_and_b32 exec_lo, exec_lo, s0
	s_cbranch_execnz .LBB2_36
.LBB2_4:
	s_endpgm
.LBB2_5:
	s_load_dwordx4 s[0:3], s[4:5], 0x48
	s_waitcnt lgkmcnt(0)
	v_add_co_u32 v4, vcc_lo, s0, v10
	v_add_co_ci_u32_e64 v5, null, s1, v11, vcc_lo
	s_lshl_b64 s[0:1], s[2:3], 2
	global_load_dwordx2 v[4:5], v[4:5], off
	s_waitcnt vmcnt(0)
	v_add_co_u32 v10, vcc_lo, v4, s0
	v_add_co_ci_u32_e64 v11, null, s1, v5, vcc_lo
	s_mov_b32 s1, exec_lo
	flat_load_dword v18, v[2:3]
	flat_load_dword v16, v[10:11]
	s_waitcnt vmcnt(0) lgkmcnt(0)
	v_mul_f32_e32 v17, v18, v16
	v_cmp_neq_f32_e64 s0, 0, v17
	v_cmpx_eq_f32_e32 0, v17
	s_xor_b32 s1, exec_lo, s1
	s_cbranch_execz .LBB2_7
; %bb.6:
	v_mov_b32_e32 v2, -2.0
                                        ; implicit-def: $vgpr6_vgpr7
                                        ; implicit-def: $vgpr8_vgpr9
                                        ; implicit-def: $vgpr15
                                        ; implicit-def: $vgpr16
                                        ; implicit-def: $vgpr17
                                        ; implicit-def: $vgpr18
                                        ; implicit-def: $vgpr10_vgpr11
	flat_store_dword v[0:1], v2
                                        ; implicit-def: $vgpr2_vgpr3
.LBB2_7:
	s_or_saveexec_b32 s4, s1
	v_mov_b32_e32 v4, 0
	v_mov_b32_e32 v14, -2.0
	v_mov_b32_e32 v5, 0
	v_mov_b32_e32 v13, 0
	;; [unrolled: 1-line block ×3, first 2 shown]
	s_xor_b32 exec_lo, exec_lo, s4
	s_cbranch_execz .LBB2_34
; %bb.8:
	flat_load_dword v19, v[8:9]
	v_mul_f32_e32 v5, v16, v17
                                        ; implicit-def: $vgpr14
                                        ; implicit-def: $vgpr12
	s_waitcnt vmcnt(0) lgkmcnt(0)
	v_mul_f32_e32 v20, v15, v19
	v_mul_f32_e32 v4, v19, v20
	v_cmp_ngt_f32_e64 s1, |v4|, |v5|
                                        ; implicit-def: $vgpr4
	s_and_saveexec_b32 s2, s1
	s_xor_b32 s2, exec_lo, s2
	s_cbranch_execz .LBB2_14
; %bb.9:
                                        ; implicit-def: $vgpr4
                                        ; implicit-def: $vgpr12
	s_mov_b32 s1, exec_lo
	v_cmpx_ngt_f32_e32 0, v5
	s_xor_b32 s3, exec_lo, s1
	s_cbranch_execz .LBB2_11
; %bb.10:
	v_div_scale_f32 v4, null, v17, v17, v20
	v_div_scale_f32 v5, null, v16, v16, v19
	v_div_scale_f32 v22, vcc_lo, v20, v17, v20
	v_rcp_f32_e32 v12, v4
	v_rcp_f32_e32 v13, v5
	v_fma_f32 v14, -v4, v12, 1.0
	v_fma_f32 v21, -v5, v13, 1.0
	v_fmac_f32_e32 v12, v14, v12
	v_div_scale_f32 v14, s1, v19, v16, v19
	v_fmac_f32_e32 v13, v21, v13
	v_mul_f32_e32 v21, v22, v12
	v_mul_f32_e32 v23, v14, v13
	v_fma_f32 v24, -v4, v21, v22
	v_fma_f32 v25, -v5, v23, v14
	v_fmac_f32_e32 v21, v24, v12
	v_fmac_f32_e32 v23, v25, v13
	v_fma_f32 v4, -v4, v21, v22
	v_fma_f32 v5, -v5, v23, v14
	v_div_fmas_f32 v4, v4, v12, v21
	s_mov_b32 vcc_lo, s1
	v_div_fmas_f32 v5, v5, v13, v23
	v_div_fixup_f32 v4, v4, v17, v20
	v_div_fixup_f32 v12, v5, v16, v19
	v_fma_f32 v5, v12, v4, 1.0
	v_div_scale_f32 v13, null, v5, v5, v18
	v_div_scale_f32 v14, null, v5, v5, v15
	v_div_scale_f32 v21, vcc_lo, v18, v5, v18
	v_rcp_f32_e32 v16, v13
	v_rcp_f32_e32 v17, v14
	v_fma_f32 v19, -v13, v16, 1.0
	v_fma_f32 v20, -v14, v17, 1.0
	v_fmac_f32_e32 v16, v19, v16
	v_div_scale_f32 v19, s1, v15, v5, v15
	v_fmac_f32_e32 v17, v20, v17
	v_mul_f32_e32 v20, v21, v16
	v_mul_f32_e32 v22, v19, v17
	v_fma_f32 v23, -v13, v20, v21
	v_fma_f32 v24, -v14, v22, v19
	v_fmac_f32_e32 v20, v23, v16
	v_fmac_f32_e32 v22, v24, v17
	v_fma_f32 v13, -v13, v20, v21
	v_fma_f32 v14, -v14, v22, v19
	v_div_fmas_f32 v13, v13, v16, v20
	s_mov_b32 vcc_lo, s1
	v_div_fmas_f32 v14, v14, v17, v22
	v_div_fixup_f32 v13, v13, v5, v18
	v_div_fixup_f32 v14, v14, v5, v15
	flat_store_dword v[2:3], v14
	flat_store_dword v[6:7], v13
	flat_load_dword v10, v[10:11]
	s_waitcnt vmcnt(0) lgkmcnt(0)
	v_mul_f32_e32 v5, v5, v10
	flat_store_dword v[8:9], v5
.LBB2_11:
	s_or_saveexec_b32 s1, s3
	v_mov_b32_e32 v14, 1.0
	s_xor_b32 exec_lo, exec_lo, s1
	s_cbranch_execz .LBB2_13
; %bb.12:
	v_mov_b32_e32 v4, 0
	v_mov_b32_e32 v14, -1.0
	v_mov_b32_e32 v12, 0
	flat_store_dword v[8:9], v4
	flat_store_dword v[2:3], v4
	;; [unrolled: 1-line block ×3, first 2 shown]
.LBB2_13:
	s_or_b32 exec_lo, exec_lo, s1
                                        ; implicit-def: $vgpr19
                                        ; implicit-def: $vgpr16
                                        ; implicit-def: $vgpr20
                                        ; implicit-def: $vgpr17
                                        ; implicit-def: $vgpr15
.LBB2_14:
	s_or_saveexec_b32 s2, s2
	v_mov_b32_e32 v13, 0
	v_mov_b32_e32 v5, 0
	s_xor_b32 exec_lo, exec_lo, s2
	s_cbranch_execz .LBB2_18
; %bb.15:
	v_div_scale_f32 v4, null, v19, v19, -v16
	v_div_scale_f32 v5, null, v20, v20, v17
	v_div_scale_f32 v14, vcc_lo, -v16, v19, -v16
	v_rcp_f32_e32 v10, v4
	v_rcp_f32_e32 v11, v5
	v_fma_f32 v12, -v4, v10, 1.0
	v_fma_f32 v13, -v5, v11, 1.0
	v_fmac_f32_e32 v10, v12, v10
	v_div_scale_f32 v12, s1, v17, v20, v17
	v_fmac_f32_e32 v11, v13, v11
	v_mul_f32_e32 v13, v14, v10
	v_mul_f32_e32 v18, v12, v11
	v_fma_f32 v21, -v4, v13, v14
	v_fma_f32 v22, -v5, v18, v12
	v_fmac_f32_e32 v13, v21, v10
	v_fmac_f32_e32 v18, v22, v11
	v_fma_f32 v4, -v4, v13, v14
	v_mov_b32_e32 v14, -1.0
	v_fma_f32 v5, -v5, v18, v12
	v_div_fmas_f32 v4, v4, v10, v13
	s_mov_b32 vcc_lo, s1
	s_mov_b32 s1, exec_lo
	v_div_fmas_f32 v10, v5, v11, v18
	v_div_fixup_f32 v5, v4, v19, -v16
	v_div_fixup_f32 v13, v10, v20, v17
	v_fma_f32 v4, -v5, v13, 1.0
	v_cmpx_lt_f32_e32 0, v4
	s_cbranch_execz .LBB2_17
; %bb.16:
	v_div_scale_f32 v10, null, v4, v4, v15
	v_div_scale_f32 v14, vcc_lo, v15, v4, v15
	v_rcp_f32_e32 v11, v10
	v_fma_f32 v12, -v10, v11, 1.0
	v_fmac_f32_e32 v11, v12, v11
	v_mul_f32_e32 v12, v14, v11
	v_fma_f32 v16, -v10, v12, v14
	v_fmac_f32_e32 v12, v16, v11
	v_fma_f32 v10, -v10, v12, v14
	v_div_fmas_f32 v10, v10, v11, v12
	v_div_fixup_f32 v10, v10, v4, v15
	flat_store_dword v[6:7], v10
	flat_load_dword v10, v[2:3]
	s_waitcnt vmcnt(0) lgkmcnt(0)
	v_div_scale_f32 v11, null, v4, v4, v10
	v_rcp_f32_e32 v12, v11
	v_fma_f32 v14, -v11, v12, 1.0
	v_fmac_f32_e32 v12, v14, v12
	v_div_scale_f32 v14, vcc_lo, v10, v4, v10
	v_mul_f32_e32 v15, v14, v12
	v_fma_f32 v16, -v11, v15, v14
	v_fmac_f32_e32 v15, v16, v12
	v_fma_f32 v11, -v11, v15, v14
	v_mov_b32_e32 v14, 0
	v_div_fmas_f32 v11, v11, v12, v15
	v_div_fixup_f32 v10, v11, v4, v10
	flat_store_dword v[2:3], v10
	flat_load_dword v10, v[8:9]
	s_waitcnt vmcnt(0) lgkmcnt(0)
	v_mul_f32_e32 v4, v4, v10
	flat_store_dword v[8:9], v4
.LBB2_17:
	s_or_b32 exec_lo, exec_lo, s1
	v_mov_b32_e32 v12, 0
	v_mov_b32_e32 v4, 0
.LBB2_18:
	s_or_b32 exec_lo, exec_lo, s2
	flat_load_dword v10, v[6:7]
	s_mov_b32 s3, exec_lo
	s_waitcnt vmcnt(0) lgkmcnt(0)
	v_cmpx_neq_f32_e32 0, v10
	s_cbranch_execz .LBB2_25
; %bb.19:
	v_cmp_ge_f32_e64 s1, 0x33800000, v10
	v_cmp_le_f32_e64 s2, 0x4b800000, v10
	v_cmp_nge_f32_e32 vcc_lo, 0x33800000, v10
	s_or_b32 s1, s1, s2
	s_and_saveexec_b32 s5, s1
	s_cbranch_execz .LBB2_24
; %bb.20:
	v_cndmask_b32_e64 v11, 24, 0xffffffe8, vcc_lo
	s_mov_b32 s7, 0
	v_ldexp_f32 v10, v10, v11
	flat_store_dword v[6:7], v10
	flat_load_dword v11, v[8:9]
	v_mov_b32_e32 v10, 0x45800000
	v_cndmask_b32_e32 v15, 0x39800000, v10, vcc_lo
	v_cmp_eq_f32_e32 vcc_lo, 0, v14
	v_cndmask_b32_e32 v13, 1.0, v13, vcc_lo
	v_cndmask_b32_e64 v4, v4, 1.0, vcc_lo
	v_cndmask_b32_e32 v5, -1.0, v5, vcc_lo
	v_mul_f32_e32 v13, v13, v15
	v_mul_f32_e32 v4, v4, v15
	s_waitcnt vmcnt(0) lgkmcnt(0)
	v_mul_f32_e32 v11, v15, v11
	flat_store_dword v[8:9], v11
	flat_load_dword v11, v[6:7]
	s_waitcnt vmcnt(0) lgkmcnt(0)
	v_cmp_ge_f32_e64 s1, 0x33800000, v11
	v_cmp_le_f32_e64 s2, 0x4b800000, v11
	v_cmp_nge_f32_e64 s8, 0x33800000, v11
	s_or_b32 s1, s1, s2
	s_and_saveexec_b32 s2, s1
	s_cbranch_execz .LBB2_23
	.p2align	6
.LBB2_21:                               ; =>This Inner Loop Header: Depth=1
	v_cndmask_b32_e64 v5, 24, 0xffffffe8, s8
	v_cndmask_b32_e64 v13, 0x39800000, v10, s8
	v_ldexp_f32 v5, v11, v5
	v_mul_f32_e32 v4, v13, v4
	flat_store_dword v[6:7], v5
	flat_load_dword v5, v[8:9]
	s_waitcnt vmcnt(0) lgkmcnt(0)
	v_mul_f32_e32 v5, v13, v5
	flat_store_dword v[8:9], v5
	flat_load_dword v11, v[6:7]
	s_waitcnt vmcnt(0) lgkmcnt(0)
	v_cmp_nge_f32_e64 s8, 0x33800000, v11
	v_cmp_nle_f32_e64 s1, 0x4b800000, v11
	s_and_b32 s1, s8, s1
	s_and_b32 s1, exec_lo, s1
	s_or_b32 s7, s1, s7
	s_andn2_b32 exec_lo, exec_lo, s7
	s_cbranch_execnz .LBB2_21
; %bb.22:
	s_or_b32 exec_lo, exec_lo, s7
	v_mov_b32_e32 v5, -1.0
.LBB2_23:
	s_or_b32 exec_lo, exec_lo, s2
	v_cndmask_b32_e64 v12, v12, 1.0, vcc_lo
	v_mov_b32_e32 v14, -1.0
.LBB2_24:
	s_or_b32 exec_lo, exec_lo, s5
.LBB2_25:
	s_or_b32 exec_lo, exec_lo, s3
	flat_load_dword v6, v[2:3]
	s_mov_b32 s5, exec_lo
	s_waitcnt vmcnt(0) lgkmcnt(0)
	v_cmpx_neq_f32_e32 0, v6
	s_cbranch_execz .LBB2_33
; %bb.26:
	v_cmp_gt_f32_e32 vcc_lo, 0, v6
	v_cndmask_b32_e64 v7, v6, -v6, vcc_lo
	v_cmp_ge_f32_e32 vcc_lo, 0x33800000, v7
	v_cmp_le_f32_e64 s2, 0x4b800000, v7
	v_cmp_nge_f32_e64 s1, 0x33800000, v7
	s_or_b32 s2, vcc_lo, s2
	s_and_saveexec_b32 s7, s2
	s_cbranch_execz .LBB2_32
; %bb.27:
	v_cndmask_b32_e64 v7, 24, 0xffffffe8, s1
	v_mov_b32_e32 v8, 0x45800000
	v_cmp_eq_f32_e32 vcc_lo, 0, v14
	v_ldexp_f32 v6, v6, v7
	v_cndmask_b32_e64 v8, 0x39800000, v8, s1
	v_cndmask_b32_e64 v7, v12, 1.0, vcc_lo
	v_cndmask_b32_e32 v5, -1.0, v5, vcc_lo
	v_cndmask_b32_e32 v13, 1.0, v13, vcc_lo
	v_cmp_gt_f32_e64 s1, 0, v6
	flat_store_dword v[2:3], v6
	v_mul_f32_e32 v12, v7, v8
	v_mul_f32_e32 v5, v5, v8
	v_cndmask_b32_e64 v9, v6, -v6, s1
	v_cmp_ge_f32_e64 s2, 0x33800000, v9
	v_cmp_le_f32_e64 s3, 0x4b800000, v9
	v_cmp_nge_f32_e64 s1, 0x33800000, v9
	s_or_b32 s2, s2, s3
	s_and_saveexec_b32 s3, s2
	s_cbranch_execz .LBB2_31
; %bb.28:
	v_mov_b32_e32 v5, 0x33800000
	s_mov_b32 s8, 0
	s_and_b32 s10, s1, exec_lo
                                        ; implicit-def: $sgpr9
	.p2align	6
.LBB2_29:                               ; =>This Inner Loop Header: Depth=1
	v_cndmask_b32_e64 v7, 0x4b800000, v5, s10
	v_mul_f32_e32 v6, v7, v6
	v_cmp_gt_f32_e64 s1, 0, v6
	v_cndmask_b32_e64 v7, v6, -v6, s1
	v_cmp_nge_f32_e64 s1, 0x33800000, v7
	v_cmp_nle_f32_e64 s2, 0x4b800000, v7
	v_cndmask_b32_e64 v7, -12, 12, s10
	s_and_b32 s2, s1, s2
	v_ldexp_f32 v12, v12, v7
	s_and_b32 s2, exec_lo, s2
	s_or_b32 s8, s2, s8
	s_andn2_b32 s2, s10, exec_lo
	s_and_b32 s1, s1, exec_lo
	s_andn2_b32 s9, s9, exec_lo
	s_and_b32 s10, s10, exec_lo
	s_or_b32 s1, s2, s1
	s_or_b32 s9, s9, s10
	s_mov_b32 s10, s1
	s_andn2_b32 exec_lo, exec_lo, s8
	s_cbranch_execnz .LBB2_29
; %bb.30:
	s_or_b32 exec_lo, exec_lo, s8
	v_mov_b32_e32 v5, 0xc5800000
	v_mov_b32_e32 v13, 1.0
	flat_store_dword v[2:3], v6
	v_cndmask_b32_e64 v5, 0xb9800000, v5, s9
.LBB2_31:
	s_or_b32 exec_lo, exec_lo, s3
	v_cndmask_b32_e64 v4, v4, 1.0, vcc_lo
	v_mov_b32_e32 v14, -1.0
.LBB2_32:
	s_or_b32 exec_lo, exec_lo, s7
.LBB2_33:
	s_or_b32 exec_lo, exec_lo, s5
.LBB2_34:
	s_or_b32 exec_lo, exec_lo, s4
	s_and_b32 s0, s0, exec_lo
                                        ; implicit-def: $vgpr8_vgpr9
                                        ; implicit-def: $vgpr2_vgpr3
                                        ; implicit-def: $vgpr6_vgpr7
	s_andn2_saveexec_b32 s1, s6
	s_cbranch_execz .LBB2_3
.LBB2_35:
	v_mov_b32_e32 v4, 0
	v_mov_b32_e32 v14, -1.0
	v_mov_b32_e32 v5, 0
	v_mov_b32_e32 v13, 0
	;; [unrolled: 1-line block ×3, first 2 shown]
	s_or_b32 s0, s0, exec_lo
	flat_store_dword v[8:9], v4
	flat_store_dword v[2:3], v4
	;; [unrolled: 1-line block ×3, first 2 shown]
	s_or_b32 exec_lo, exec_lo, s1
	s_and_b32 exec_lo, exec_lo, s0
	s_cbranch_execz .LBB2_4
.LBB2_36:
	s_mov_b32 s0, exec_lo
                                        ; implicit-def: $vgpr2_vgpr3
                                        ; implicit-def: $vgpr8
                                        ; implicit-def: $vgpr6_vgpr7
	v_cmpx_ngt_f32_e32 0, v14
	s_xor_b32 s0, exec_lo, s0
	s_cbranch_execz .LBB2_38
; %bb.37:
	v_cmp_eq_f32_e32 vcc_lo, 0, v14
	v_mov_b32_e32 v7, 0
	v_cndmask_b32_e64 v6, 4, 8, vcc_lo
	v_cndmask_b32_e32 v8, v4, v5, vcc_lo
	v_cndmask_b32_e64 v2, 16, 12, vcc_lo
	v_mov_b32_e32 v3, v7
	v_cndmask_b32_e32 v12, v12, v13, vcc_lo
                                        ; implicit-def: $vgpr4
                                        ; implicit-def: $vgpr13
.LBB2_38:
	s_andn2_saveexec_b32 s0, s0
	s_cbranch_execz .LBB2_40
; %bb.39:
	v_mov_b32_e32 v2, 16
	v_mov_b32_e32 v6, 12
	;; [unrolled: 1-line block ×5, first 2 shown]
	flat_store_dwordx2 v[0:1], v[4:5] offset:4
.LBB2_40:
	s_or_b32 exec_lo, exec_lo, s0
	v_add_co_u32 v4, vcc_lo, v0, v6
	v_add_co_ci_u32_e64 v5, null, v1, v7, vcc_lo
	v_add_co_u32 v2, vcc_lo, v0, v2
	v_add_co_ci_u32_e64 v3, null, v1, v3, vcc_lo
	flat_store_dword v[4:5], v8
	flat_store_dword v[2:3], v12
	;; [unrolled: 1-line block ×3, first 2 shown]
	s_endpgm
	.section	.rodata,"a",@progbits
	.p2align	6, 0x0
	.amdhsa_kernel _ZL20rocblas_rotmg_kernelILi32EPKPfPKPKfEvT0_llS7_llS7_llT1_llS7_lli
		.amdhsa_group_segment_fixed_size 0
		.amdhsa_private_segment_fixed_size 0
		.amdhsa_kernarg_size 124
		.amdhsa_user_sgpr_count 6
		.amdhsa_user_sgpr_private_segment_buffer 1
		.amdhsa_user_sgpr_dispatch_ptr 0
		.amdhsa_user_sgpr_queue_ptr 0
		.amdhsa_user_sgpr_kernarg_segment_ptr 1
		.amdhsa_user_sgpr_dispatch_id 0
		.amdhsa_user_sgpr_flat_scratch_init 0
		.amdhsa_user_sgpr_private_segment_size 0
		.amdhsa_wavefront_size32 1
		.amdhsa_uses_dynamic_stack 0
		.amdhsa_system_sgpr_private_segment_wavefront_offset 0
		.amdhsa_system_sgpr_workgroup_id_x 1
		.amdhsa_system_sgpr_workgroup_id_y 0
		.amdhsa_system_sgpr_workgroup_id_z 0
		.amdhsa_system_sgpr_workgroup_info 0
		.amdhsa_system_vgpr_workitem_id 0
		.amdhsa_next_free_vgpr 26
		.amdhsa_next_free_sgpr 20
		.amdhsa_reserve_vcc 1
		.amdhsa_reserve_flat_scratch 0
		.amdhsa_float_round_mode_32 0
		.amdhsa_float_round_mode_16_64 0
		.amdhsa_float_denorm_mode_32 3
		.amdhsa_float_denorm_mode_16_64 3
		.amdhsa_dx10_clamp 1
		.amdhsa_ieee_mode 1
		.amdhsa_fp16_overflow 0
		.amdhsa_workgroup_processor_mode 1
		.amdhsa_memory_ordered 1
		.amdhsa_forward_progress 1
		.amdhsa_shared_vgpr_count 0
		.amdhsa_exception_fp_ieee_invalid_op 0
		.amdhsa_exception_fp_denorm_src 0
		.amdhsa_exception_fp_ieee_div_zero 0
		.amdhsa_exception_fp_ieee_overflow 0
		.amdhsa_exception_fp_ieee_underflow 0
		.amdhsa_exception_fp_ieee_inexact 0
		.amdhsa_exception_int_div_zero 0
	.end_amdhsa_kernel
	.section	.text._ZL20rocblas_rotmg_kernelILi32EPKPfPKPKfEvT0_llS7_llS7_llT1_llS7_lli,"axG",@progbits,_ZL20rocblas_rotmg_kernelILi32EPKPfPKPKfEvT0_llS7_llS7_llT1_llS7_lli,comdat
.Lfunc_end2:
	.size	_ZL20rocblas_rotmg_kernelILi32EPKPfPKPKfEvT0_llS7_llS7_llT1_llS7_lli, .Lfunc_end2-_ZL20rocblas_rotmg_kernelILi32EPKPfPKPKfEvT0_llS7_llS7_llT1_llS7_lli
                                        ; -- End function
	.set _ZL20rocblas_rotmg_kernelILi32EPKPfPKPKfEvT0_llS7_llS7_llT1_llS7_lli.num_vgpr, 26
	.set _ZL20rocblas_rotmg_kernelILi32EPKPfPKPKfEvT0_llS7_llS7_llT1_llS7_lli.num_agpr, 0
	.set _ZL20rocblas_rotmg_kernelILi32EPKPfPKPKfEvT0_llS7_llS7_llT1_llS7_lli.numbered_sgpr, 20
	.set _ZL20rocblas_rotmg_kernelILi32EPKPfPKPKfEvT0_llS7_llS7_llT1_llS7_lli.num_named_barrier, 0
	.set _ZL20rocblas_rotmg_kernelILi32EPKPfPKPKfEvT0_llS7_llS7_llT1_llS7_lli.private_seg_size, 0
	.set _ZL20rocblas_rotmg_kernelILi32EPKPfPKPKfEvT0_llS7_llS7_llT1_llS7_lli.uses_vcc, 1
	.set _ZL20rocblas_rotmg_kernelILi32EPKPfPKPKfEvT0_llS7_llS7_llT1_llS7_lli.uses_flat_scratch, 0
	.set _ZL20rocblas_rotmg_kernelILi32EPKPfPKPKfEvT0_llS7_llS7_llT1_llS7_lli.has_dyn_sized_stack, 0
	.set _ZL20rocblas_rotmg_kernelILi32EPKPfPKPKfEvT0_llS7_llS7_llT1_llS7_lli.has_recursion, 0
	.set _ZL20rocblas_rotmg_kernelILi32EPKPfPKPKfEvT0_llS7_llS7_llT1_llS7_lli.has_indirect_call, 0
	.section	.AMDGPU.csdata,"",@progbits
; Kernel info:
; codeLenInByte = 2456
; TotalNumSgprs: 22
; NumVgprs: 26
; ScratchSize: 0
; MemoryBound: 0
; FloatMode: 240
; IeeeMode: 1
; LDSByteSize: 0 bytes/workgroup (compile time only)
; SGPRBlocks: 0
; VGPRBlocks: 3
; NumSGPRsForWavesPerEU: 22
; NumVGPRsForWavesPerEU: 26
; Occupancy: 16
; WaveLimiterHint : 1
; COMPUTE_PGM_RSRC2:SCRATCH_EN: 0
; COMPUTE_PGM_RSRC2:USER_SGPR: 6
; COMPUTE_PGM_RSRC2:TRAP_HANDLER: 0
; COMPUTE_PGM_RSRC2:TGID_X_EN: 1
; COMPUTE_PGM_RSRC2:TGID_Y_EN: 0
; COMPUTE_PGM_RSRC2:TGID_Z_EN: 0
; COMPUTE_PGM_RSRC2:TIDIG_COMP_CNT: 0
	.section	.text._ZL20rocblas_rotmg_kernelILi32EPKPdPKPKdEvT0_llS7_llS7_llT1_llS7_lli,"axG",@progbits,_ZL20rocblas_rotmg_kernelILi32EPKPdPKPKdEvT0_llS7_llS7_llT1_llS7_lli,comdat
	.globl	_ZL20rocblas_rotmg_kernelILi32EPKPdPKPKdEvT0_llS7_llS7_llT1_llS7_lli ; -- Begin function _ZL20rocblas_rotmg_kernelILi32EPKPdPKPKdEvT0_llS7_llS7_llT1_llS7_lli
	.p2align	8
	.type	_ZL20rocblas_rotmg_kernelILi32EPKPdPKPKdEvT0_llS7_llS7_llT1_llS7_lli,@function
_ZL20rocblas_rotmg_kernelILi32EPKPdPKPKdEvT0_llS7_llS7_llT1_llS7_lli: ; @_ZL20rocblas_rotmg_kernelILi32EPKPdPKPKdEvT0_llS7_llS7_llT1_llS7_lli
; %bb.0:
	s_load_dword s0, s[4:5], 0x78
	v_lshl_or_b32 v0, s6, 5, v0
	s_waitcnt lgkmcnt(0)
	v_cmp_gt_i32_e32 vcc_lo, s0, v0
	s_and_saveexec_b32 s0, vcc_lo
	s_cbranch_execz .LBB3_4
; %bb.1:
	s_clause 0x1
	s_load_dwordx4 s[16:19], s[4:5], 0x0
	s_load_dwordx4 s[0:3], s[4:5], 0x18
	v_mov_b32_e32 v1, 0
                                        ; implicit-def: $vgpr16_vgpr17
                                        ; implicit-def: $vgpr14_vgpr15
	v_lshlrev_b64 v[2:3], 3, v[0:1]
	s_waitcnt lgkmcnt(0)
	v_add_co_u32 v0, vcc_lo, s16, v2
	v_add_co_ci_u32_e64 v1, null, s17, v3, vcc_lo
	s_lshl_b64 s[6:7], s[18:19], 3
	global_load_dwordx2 v[0:1], v[0:1], off
	s_clause 0x1
	s_load_dwordx4 s[12:15], s[4:5], 0x30
	s_load_dwordx4 s[8:11], s[4:5], 0x60
	s_waitcnt vmcnt(0)
	v_add_co_u32 v10, vcc_lo, v0, s6
	v_add_co_ci_u32_e64 v11, null, s7, v1, vcc_lo
	v_add_co_u32 v0, vcc_lo, s0, v2
	v_add_co_ci_u32_e64 v1, null, s1, v3, vcc_lo
	s_waitcnt lgkmcnt(0)
	v_add_co_u32 v4, vcc_lo, s12, v2
	v_add_co_ci_u32_e64 v5, null, s13, v3, vcc_lo
	flat_load_dwordx2 v[18:19], v[10:11]
	global_load_dwordx2 v[0:1], v[0:1], off
	global_load_dwordx2 v[4:5], v[4:5], off
	v_add_co_u32 v6, vcc_lo, s8, v2
	v_add_co_ci_u32_e64 v7, null, s9, v3, vcc_lo
	s_lshl_b64 s[0:1], s[2:3], 3
	global_load_dwordx2 v[8:9], v[6:7], off
	s_waitcnt vmcnt(2)
	v_add_co_u32 v6, s0, v0, s0
	v_add_co_ci_u32_e64 v7, null, s1, v1, s0
	s_lshl_b64 s[0:1], s[14:15], 3
                                        ; implicit-def: $vgpr0_vgpr1
	s_waitcnt vmcnt(1)
	v_add_co_u32 v12, s0, v4, s0
	v_add_co_ci_u32_e64 v13, null, s1, v5, s0
	s_lshl_b64 s[0:1], s[10:11], 3
	s_waitcnt vmcnt(0)
	v_add_co_u32 v4, s0, v8, s0
	v_add_co_ci_u32_e64 v5, null, s1, v9, s0
	s_mov_b32 s0, 0
                                        ; implicit-def: $vgpr8_vgpr9
	s_mov_b32 s1, exec_lo
	s_waitcnt lgkmcnt(0)
	v_cmpx_ngt_f64_e32 0, v[18:19]
	s_xor_b32 s6, exec_lo, s1
	s_cbranch_execnz .LBB3_5
; %bb.2:
	s_andn2_saveexec_b32 s1, s6
	s_cbranch_execnz .LBB3_35
.LBB3_3:
	s_or_b32 exec_lo, exec_lo, s1
	s_and_b32 exec_lo, exec_lo, s0
	s_cbranch_execnz .LBB3_36
.LBB3_4:
	s_endpgm
.LBB3_5:
	s_load_dwordx4 s[0:3], s[4:5], 0x48
	s_waitcnt lgkmcnt(0)
	v_add_co_u32 v0, vcc_lo, s0, v2
	v_add_co_ci_u32_e64 v1, null, s1, v3, vcc_lo
	s_lshl_b64 s[0:1], s[2:3], 3
	global_load_dwordx2 v[0:1], v[0:1], off
	s_waitcnt vmcnt(0)
	v_add_co_u32 v24, vcc_lo, v0, s0
	v_add_co_ci_u32_e64 v25, null, s1, v1, vcc_lo
	s_mov_b32 s1, exec_lo
	flat_load_dwordx2 v[26:27], v[6:7]
	flat_load_dwordx2 v[20:21], v[24:25]
	s_waitcnt vmcnt(0) lgkmcnt(0)
	v_mul_f64 v[22:23], v[26:27], v[20:21]
	v_cmp_neq_f64_e64 s0, 0, v[22:23]
	v_cmpx_eq_f64_e32 0, v[22:23]
	s_xor_b32 s1, exec_lo, s1
	s_cbranch_execz .LBB3_7
; %bb.6:
	v_mov_b32_e32 v0, 0
	v_mov_b32_e32 v1, -2.0
                                        ; implicit-def: $vgpr6_vgpr7
                                        ; implicit-def: $vgpr10_vgpr11
                                        ; implicit-def: $vgpr12_vgpr13
                                        ; implicit-def: $vgpr18_vgpr19
                                        ; implicit-def: $vgpr20_vgpr21
                                        ; implicit-def: $vgpr22_vgpr23
                                        ; implicit-def: $vgpr26_vgpr27
                                        ; implicit-def: $vgpr24_vgpr25
	flat_store_dwordx2 v[4:5], v[0:1]
.LBB3_7:
	s_or_saveexec_b32 s4, s1
	v_mov_b32_e32 v0, 0
	v_mov_b32_e32 v16, 0
	;; [unrolled: 1-line block ×6, first 2 shown]
	v_mov_b32_e32 v17, -2.0
	v_mov_b32_e32 v3, 0
	v_mov_b32_e32 v15, 0
	;; [unrolled: 1-line block ×3, first 2 shown]
	s_xor_b32 exec_lo, exec_lo, s4
	s_cbranch_execz .LBB3_34
; %bb.8:
	flat_load_dwordx2 v[28:29], v[12:13]
	v_mul_f64 v[2:3], v[20:21], v[22:23]
                                        ; implicit-def: $vgpr16_vgpr17
                                        ; implicit-def: $vgpr8_vgpr9
	s_waitcnt vmcnt(0) lgkmcnt(0)
	v_mul_f64 v[30:31], v[18:19], v[28:29]
	v_mul_f64 v[0:1], v[28:29], v[30:31]
	v_cmp_ngt_f64_e64 s1, |v[0:1]|, |v[2:3]|
                                        ; implicit-def: $vgpr0_vgpr1
	s_and_saveexec_b32 s2, s1
	s_xor_b32 s2, exec_lo, s2
	s_cbranch_execz .LBB3_14
; %bb.9:
                                        ; implicit-def: $vgpr0_vgpr1
                                        ; implicit-def: $vgpr8_vgpr9
	s_mov_b32 s1, exec_lo
	v_cmpx_ngt_f64_e32 0, v[2:3]
	s_xor_b32 s3, exec_lo, s1
	s_cbranch_execz .LBB3_11
; %bb.10:
	v_div_scale_f64 v[0:1], null, v[22:23], v[22:23], v[30:31]
	v_div_scale_f64 v[2:3], null, v[20:21], v[20:21], v[28:29]
	v_div_scale_f64 v[34:35], vcc_lo, v[30:31], v[22:23], v[30:31]
	v_rcp_f64_e32 v[8:9], v[0:1]
	v_rcp_f64_e32 v[14:15], v[2:3]
	v_fma_f64 v[16:17], -v[0:1], v[8:9], 1.0
	v_fma_f64 v[32:33], -v[2:3], v[14:15], 1.0
	v_fma_f64 v[8:9], v[8:9], v[16:17], v[8:9]
	v_fma_f64 v[14:15], v[14:15], v[32:33], v[14:15]
	v_fma_f64 v[16:17], -v[0:1], v[8:9], 1.0
	v_fma_f64 v[32:33], -v[2:3], v[14:15], 1.0
	v_fma_f64 v[8:9], v[8:9], v[16:17], v[8:9]
	v_div_scale_f64 v[16:17], s1, v[28:29], v[20:21], v[28:29]
	v_fma_f64 v[14:15], v[14:15], v[32:33], v[14:15]
	v_mul_f64 v[32:33], v[34:35], v[8:9]
	v_mul_f64 v[36:37], v[16:17], v[14:15]
	v_fma_f64 v[0:1], -v[0:1], v[32:33], v[34:35]
	v_fma_f64 v[2:3], -v[2:3], v[36:37], v[16:17]
	v_div_fmas_f64 v[0:1], v[0:1], v[8:9], v[32:33]
	s_mov_b32 vcc_lo, s1
	v_div_fmas_f64 v[2:3], v[2:3], v[14:15], v[36:37]
	v_div_fixup_f64 v[0:1], v[0:1], v[22:23], v[30:31]
	v_div_fixup_f64 v[8:9], v[2:3], v[20:21], v[28:29]
	v_fma_f64 v[2:3], v[8:9], v[0:1], 1.0
	v_div_scale_f64 v[14:15], null, v[2:3], v[2:3], v[26:27]
	v_div_scale_f64 v[16:17], null, v[2:3], v[2:3], v[18:19]
	v_div_scale_f64 v[32:33], vcc_lo, v[26:27], v[2:3], v[26:27]
	v_rcp_f64_e32 v[20:21], v[14:15]
	v_rcp_f64_e32 v[22:23], v[16:17]
	v_fma_f64 v[28:29], -v[14:15], v[20:21], 1.0
	v_fma_f64 v[30:31], -v[16:17], v[22:23], 1.0
	v_fma_f64 v[20:21], v[20:21], v[28:29], v[20:21]
	v_fma_f64 v[22:23], v[22:23], v[30:31], v[22:23]
	v_fma_f64 v[28:29], -v[14:15], v[20:21], 1.0
	v_fma_f64 v[30:31], -v[16:17], v[22:23], 1.0
	v_fma_f64 v[20:21], v[20:21], v[28:29], v[20:21]
	v_div_scale_f64 v[28:29], s1, v[18:19], v[2:3], v[18:19]
	v_fma_f64 v[22:23], v[22:23], v[30:31], v[22:23]
	v_mul_f64 v[30:31], v[32:33], v[20:21]
	v_mul_f64 v[34:35], v[28:29], v[22:23]
	v_fma_f64 v[14:15], -v[14:15], v[30:31], v[32:33]
	v_fma_f64 v[16:17], -v[16:17], v[34:35], v[28:29]
	v_div_fmas_f64 v[14:15], v[14:15], v[20:21], v[30:31]
	s_mov_b32 vcc_lo, s1
	v_div_fmas_f64 v[16:17], v[16:17], v[22:23], v[34:35]
	v_div_fixup_f64 v[14:15], v[14:15], v[2:3], v[26:27]
	v_div_fixup_f64 v[16:17], v[16:17], v[2:3], v[18:19]
	flat_store_dwordx2 v[6:7], v[16:17]
	flat_store_dwordx2 v[10:11], v[14:15]
	flat_load_dwordx2 v[14:15], v[24:25]
	s_waitcnt vmcnt(0) lgkmcnt(0)
	v_mul_f64 v[2:3], v[2:3], v[14:15]
	flat_store_dwordx2 v[12:13], v[2:3]
.LBB3_11:
	s_or_saveexec_b32 s1, s3
	v_mov_b32_e32 v16, 0
	v_mov_b32_e32 v17, 0x3ff00000
	s_xor_b32 exec_lo, exec_lo, s1
	s_cbranch_execz .LBB3_13
; %bb.12:
	s_mov_b32 s8, 0
	v_mov_b32_e32 v0, 0
	s_mov_b32 s9, s8
	v_mov_b32_e32 v2, s8
	v_mov_b32_e32 v16, 0
	;; [unrolled: 1-line block ×7, first 2 shown]
	flat_store_dwordx2 v[12:13], v[2:3]
	flat_store_dwordx2 v[6:7], v[2:3]
	;; [unrolled: 1-line block ×3, first 2 shown]
.LBB3_13:
	s_or_b32 exec_lo, exec_lo, s1
                                        ; implicit-def: $vgpr28_vgpr29
                                        ; implicit-def: $vgpr20_vgpr21
                                        ; implicit-def: $vgpr30_vgpr31
                                        ; implicit-def: $vgpr22_vgpr23
                                        ; implicit-def: $vgpr18_vgpr19
.LBB3_14:
	s_or_saveexec_b32 s2, s2
	v_mov_b32_e32 v14, 0
	v_mov_b32_e32 v2, 0
	;; [unrolled: 1-line block ×4, first 2 shown]
	s_xor_b32 exec_lo, exec_lo, s2
	s_cbranch_execz .LBB3_18
; %bb.15:
	v_div_scale_f64 v[0:1], null, v[28:29], v[28:29], -v[20:21]
	v_div_scale_f64 v[2:3], null, v[30:31], v[30:31], v[22:23]
	v_div_scale_f64 v[26:27], vcc_lo, -v[20:21], v[28:29], -v[20:21]
	v_rcp_f64_e32 v[8:9], v[0:1]
	v_rcp_f64_e32 v[14:15], v[2:3]
	v_fma_f64 v[16:17], -v[0:1], v[8:9], 1.0
	v_fma_f64 v[24:25], -v[2:3], v[14:15], 1.0
	v_fma_f64 v[8:9], v[8:9], v[16:17], v[8:9]
	v_fma_f64 v[14:15], v[14:15], v[24:25], v[14:15]
	v_fma_f64 v[16:17], -v[0:1], v[8:9], 1.0
	v_fma_f64 v[24:25], -v[2:3], v[14:15], 1.0
	v_fma_f64 v[8:9], v[8:9], v[16:17], v[8:9]
	v_div_scale_f64 v[16:17], s1, v[22:23], v[30:31], v[22:23]
	v_fma_f64 v[14:15], v[14:15], v[24:25], v[14:15]
	v_mul_f64 v[24:25], v[26:27], v[8:9]
	v_mul_f64 v[32:33], v[16:17], v[14:15]
	v_fma_f64 v[0:1], -v[0:1], v[24:25], v[26:27]
	v_fma_f64 v[2:3], -v[2:3], v[32:33], v[16:17]
	v_mov_b32_e32 v16, 0
	v_mov_b32_e32 v17, 0xbff00000
	v_div_fmas_f64 v[0:1], v[0:1], v[8:9], v[24:25]
	s_mov_b32 vcc_lo, s1
	s_mov_b32 s1, exec_lo
	v_div_fmas_f64 v[8:9], v[2:3], v[14:15], v[32:33]
	v_div_fixup_f64 v[2:3], v[0:1], v[28:29], -v[20:21]
	v_div_fixup_f64 v[14:15], v[8:9], v[30:31], v[22:23]
	v_fma_f64 v[0:1], -v[2:3], v[14:15], 1.0
	v_cmpx_lt_f64_e32 0, v[0:1]
	s_cbranch_execz .LBB3_17
; %bb.16:
	v_div_scale_f64 v[8:9], null, v[0:1], v[0:1], v[18:19]
	v_div_scale_f64 v[22:23], vcc_lo, v[18:19], v[0:1], v[18:19]
	v_rcp_f64_e32 v[16:17], v[8:9]
	v_fma_f64 v[20:21], -v[8:9], v[16:17], 1.0
	v_fma_f64 v[16:17], v[16:17], v[20:21], v[16:17]
	v_fma_f64 v[20:21], -v[8:9], v[16:17], 1.0
	v_fma_f64 v[16:17], v[16:17], v[20:21], v[16:17]
	v_mul_f64 v[20:21], v[22:23], v[16:17]
	v_fma_f64 v[8:9], -v[8:9], v[20:21], v[22:23]
	v_div_fmas_f64 v[8:9], v[8:9], v[16:17], v[20:21]
	v_div_fixup_f64 v[8:9], v[8:9], v[0:1], v[18:19]
	flat_store_dwordx2 v[10:11], v[8:9]
	flat_load_dwordx2 v[8:9], v[6:7]
	s_waitcnt vmcnt(0) lgkmcnt(0)
	v_div_scale_f64 v[16:17], null, v[0:1], v[0:1], v[8:9]
	v_rcp_f64_e32 v[18:19], v[16:17]
	v_fma_f64 v[20:21], -v[16:17], v[18:19], 1.0
	v_fma_f64 v[18:19], v[18:19], v[20:21], v[18:19]
	v_fma_f64 v[20:21], -v[16:17], v[18:19], 1.0
	v_fma_f64 v[18:19], v[18:19], v[20:21], v[18:19]
	v_div_scale_f64 v[20:21], vcc_lo, v[8:9], v[0:1], v[8:9]
	v_mul_f64 v[22:23], v[20:21], v[18:19]
	v_fma_f64 v[16:17], -v[16:17], v[22:23], v[20:21]
	v_div_fmas_f64 v[16:17], v[16:17], v[18:19], v[22:23]
	v_div_fixup_f64 v[8:9], v[16:17], v[0:1], v[8:9]
	v_mov_b32_e32 v16, 0
	v_mov_b32_e32 v17, 0
	flat_store_dwordx2 v[6:7], v[8:9]
	flat_load_dwordx2 v[8:9], v[12:13]
	s_waitcnt vmcnt(0) lgkmcnt(0)
	v_mul_f64 v[0:1], v[0:1], v[8:9]
	flat_store_dwordx2 v[12:13], v[0:1]
.LBB3_17:
	s_or_b32 exec_lo, exec_lo, s1
	v_mov_b32_e32 v8, 0
	v_mov_b32_e32 v0, 0
	;; [unrolled: 1-line block ×4, first 2 shown]
.LBB3_18:
	s_or_b32 exec_lo, exec_lo, s2
	flat_load_dwordx2 v[18:19], v[10:11]
	s_mov_b32 s3, exec_lo
	s_waitcnt vmcnt(0) lgkmcnt(0)
	v_cmpx_neq_f64_e32 0, v[18:19]
	s_cbranch_execz .LBB3_25
; %bb.19:
	v_cmp_ge_f64_e64 s1, 0x3e700000, v[18:19]
	v_cmp_le_f64_e64 s2, 0x41700000, v[18:19]
	v_cmp_nge_f64_e32 vcc_lo, 0x3e700000, v[18:19]
	s_or_b32 s1, s1, s2
	s_and_saveexec_b32 s5, s1
	s_cbranch_execz .LBB3_24
; %bb.20:
	v_cndmask_b32_e64 v20, 24, 0xffffffe8, vcc_lo
	v_mov_b32_e32 v22, 0x40b00000
	s_mov_b32 s7, 0
	v_ldexp_f64 v[18:19], v[18:19], v20
	flat_store_dwordx2 v[10:11], v[18:19]
	flat_load_dwordx2 v[20:21], v[12:13]
	v_mov_b32_e32 v18, 0
	v_cndmask_b32_e32 v19, 0x3f300000, v22, vcc_lo
	v_cmp_eq_f64_e32 vcc_lo, 0, v[16:17]
	v_cndmask_b32_e64 v1, v1, 0x3ff00000, vcc_lo
	v_cndmask_b32_e64 v0, v0, 0, vcc_lo
	v_cndmask_b32_e32 v15, 0x3ff00000, v15, vcc_lo
	v_cndmask_b32_e32 v14, 0, v14, vcc_lo
	v_cndmask_b32_e64 v9, v9, 0x3ff00000, vcc_lo
	v_cndmask_b32_e64 v8, v8, 0, vcc_lo
	v_mul_f64 v[0:1], v[0:1], v[18:19]
	v_cndmask_b32_e32 v3, 0xbff00000, v3, vcc_lo
	v_mul_f64 v[14:15], v[14:15], v[18:19]
	v_cndmask_b32_e32 v2, 0, v2, vcc_lo
	s_waitcnt vmcnt(0) lgkmcnt(0)
	v_mul_f64 v[20:21], v[18:19], v[20:21]
	flat_store_dwordx2 v[12:13], v[20:21]
	flat_load_dwordx2 v[20:21], v[10:11]
	s_waitcnt vmcnt(0) lgkmcnt(0)
	v_cmp_ge_f64_e64 s1, 0x3e700000, v[20:21]
	v_cmp_le_f64_e64 s2, 0x41700000, v[20:21]
	v_cmp_nge_f64_e64 s8, 0x3e700000, v[20:21]
	s_or_b32 s2, s1, s2
	s_and_saveexec_b32 s1, s2
	s_cbranch_execz .LBB3_23
	.p2align	6
.LBB3_21:                               ; =>This Inner Loop Header: Depth=1
	v_cndmask_b32_e64 v2, 24, 0xffffffe8, s8
	v_cndmask_b32_e64 v19, 0x3f300000, v22, s8
	v_ldexp_f64 v[2:3], v[20:21], v2
	v_mul_f64 v[0:1], v[18:19], v[0:1]
	flat_store_dwordx2 v[10:11], v[2:3]
	flat_load_dwordx2 v[2:3], v[12:13]
	s_waitcnt vmcnt(0) lgkmcnt(0)
	v_mul_f64 v[2:3], v[18:19], v[2:3]
	flat_store_dwordx2 v[12:13], v[2:3]
	flat_load_dwordx2 v[20:21], v[10:11]
	s_waitcnt vmcnt(0) lgkmcnt(0)
	v_cmp_nge_f64_e64 s8, 0x3e700000, v[20:21]
	v_cmp_nle_f64_e32 vcc_lo, 0x41700000, v[20:21]
	s_and_b32 s2, s8, vcc_lo
	s_and_b32 s2, exec_lo, s2
	s_or_b32 s7, s2, s7
	s_andn2_b32 exec_lo, exec_lo, s7
	s_cbranch_execnz .LBB3_21
; %bb.22:
	s_or_b32 exec_lo, exec_lo, s7
	v_mov_b32_e32 v2, 0
	v_mov_b32_e32 v14, v18
	;; [unrolled: 1-line block ×4, first 2 shown]
.LBB3_23:
	s_or_b32 exec_lo, exec_lo, s1
	v_mov_b32_e32 v16, 0
	v_mov_b32_e32 v17, 0xbff00000
.LBB3_24:
	s_or_b32 exec_lo, exec_lo, s5
.LBB3_25:
	s_or_b32 exec_lo, exec_lo, s3
	flat_load_dwordx2 v[10:11], v[6:7]
	s_mov_b32 s5, exec_lo
	s_waitcnt vmcnt(0) lgkmcnt(0)
	v_cmpx_neq_f64_e32 0, v[10:11]
	s_cbranch_execz .LBB3_33
; %bb.26:
	v_cmp_gt_f64_e32 vcc_lo, 0, v[10:11]
	v_xor_b32_e32 v13, 0x80000000, v11
	v_mov_b32_e32 v12, v10
	v_cndmask_b32_e32 v13, v11, v13, vcc_lo
	v_cmp_ge_f64_e64 s1, 0x3e700000, v[12:13]
	v_cmp_le_f64_e64 s2, 0x41700000, v[12:13]
	v_cmp_nge_f64_e32 vcc_lo, 0x3e700000, v[12:13]
	s_or_b32 s1, s1, s2
	s_and_saveexec_b32 s7, s1
	s_cbranch_execz .LBB3_32
; %bb.27:
	v_cndmask_b32_e64 v12, 24, 0xffffffe8, vcc_lo
	v_mov_b32_e32 v13, 0x40b00000
	v_cmp_eq_f64_e64 s1, 0, v[16:17]
	s_mov_b32 s8, 0
	v_ldexp_f64 v[10:11], v[10:11], v12
	v_cndmask_b32_e32 v13, 0x3f300000, v13, vcc_lo
	v_mov_b32_e32 v12, 0
	v_cndmask_b32_e64 v9, v9, 0x3ff00000, s1
	v_cndmask_b32_e64 v3, 0xbff00000, v3, s1
	;; [unrolled: 1-line block ×3, first 2 shown]
	v_cmp_gt_f64_e32 vcc_lo, 0, v[10:11]
	v_xor_b32_e32 v17, 0x80000000, v11
	v_mov_b32_e32 v16, v10
	v_cndmask_b32_e64 v8, v8, 0, s1
	v_mul_f64 v[2:3], v[2:3], v[12:13]
	v_cndmask_b32_e64 v15, 0x3ff00000, v15, s1
	v_cndmask_b32_e64 v14, 0, v14, s1
	;; [unrolled: 1-line block ×3, first 2 shown]
	v_mul_f64 v[8:9], v[8:9], v[12:13]
	v_cndmask_b32_e64 v0, v0, 0, s1
	flat_store_dwordx2 v[6:7], v[10:11]
	v_cndmask_b32_e32 v17, v11, v17, vcc_lo
	v_cmp_ge_f64_e64 s2, 0x3e700000, v[16:17]
	v_cmp_le_f64_e64 s3, 0x41700000, v[16:17]
	v_cmp_nge_f64_e32 vcc_lo, 0x3e700000, v[16:17]
	s_or_b32 s1, s2, s3
	s_and_saveexec_b32 s2, s1
	s_cbranch_execz .LBB3_31
; %bb.28:
	v_mov_b32_e32 v2, 0x3e700000
	s_and_b32 s9, vcc_lo, exec_lo
                                        ; implicit-def: $sgpr3
	.p2align	6
.LBB3_29:                               ; =>This Inner Loop Header: Depth=1
	v_cndmask_b32_e64 v13, 0x41700000, v2, s9
	v_mul_f64 v[10:11], v[12:13], v[10:11]
	v_cmp_gt_f64_e32 vcc_lo, 0, v[10:11]
	v_xor_b32_e32 v3, 0x80000000, v11
	v_mov_b32_e32 v13, v10
	v_cndmask_b32_e32 v14, v11, v3, vcc_lo
	v_cndmask_b32_e64 v3, -12, 12, s9
	v_cmp_nge_f64_e32 vcc_lo, 0x3e700000, v[13:14]
	v_cmp_nle_f64_e64 s1, 0x41700000, v[13:14]
	v_ldexp_f64 v[8:9], v[8:9], v3
	s_and_b32 s1, vcc_lo, s1
	s_and_b32 s1, exec_lo, s1
	s_or_b32 s8, s1, s8
	s_andn2_b32 s1, s9, exec_lo
	s_and_b32 s10, vcc_lo, exec_lo
	s_andn2_b32 s3, s3, exec_lo
	s_and_b32 s9, s9, exec_lo
	s_or_b32 s1, s1, s10
	s_or_b32 s3, s3, s9
	s_mov_b32 s9, s1
	s_andn2_b32 exec_lo, exec_lo, s8
	s_cbranch_execnz .LBB3_29
; %bb.30:
	s_or_b32 exec_lo, exec_lo, s8
	v_mov_b32_e32 v2, 0xc0b00000
	v_mov_b32_e32 v14, 0
	;; [unrolled: 1-line block ×3, first 2 shown]
	flat_store_dwordx2 v[6:7], v[10:11]
	v_cndmask_b32_e64 v3, 0xbf300000, v2, s3
	v_mov_b32_e32 v2, 0
.LBB3_31:
	s_or_b32 exec_lo, exec_lo, s2
	v_mov_b32_e32 v16, 0
	v_mov_b32_e32 v17, 0xbff00000
.LBB3_32:
	s_or_b32 exec_lo, exec_lo, s7
.LBB3_33:
	s_or_b32 exec_lo, exec_lo, s5
.LBB3_34:
	s_or_b32 exec_lo, exec_lo, s4
	s_and_b32 s0, s0, exec_lo
                                        ; implicit-def: $vgpr12_vgpr13
                                        ; implicit-def: $vgpr6_vgpr7
                                        ; implicit-def: $vgpr10_vgpr11
	s_andn2_saveexec_b32 s1, s6
	s_cbranch_execz .LBB3_3
.LBB3_35:
	s_mov_b32 s2, 0
	v_mov_b32_e32 v0, 0
	s_mov_b32 s3, s2
	v_mov_b32_e32 v16, 0
	v_mov_b32_e32 v19, s3
	;; [unrolled: 1-line block ×11, first 2 shown]
	s_or_b32 s0, s0, exec_lo
	flat_store_dwordx2 v[12:13], v[18:19]
	flat_store_dwordx2 v[6:7], v[18:19]
	;; [unrolled: 1-line block ×3, first 2 shown]
	s_or_b32 exec_lo, exec_lo, s1
	s_and_b32 exec_lo, exec_lo, s0
	s_cbranch_execz .LBB3_4
.LBB3_36:
	s_mov_b32 s0, exec_lo
                                        ; implicit-def: $vgpr10_vgpr11
                                        ; implicit-def: $vgpr12_vgpr13
                                        ; implicit-def: $vgpr6_vgpr7
	v_cmpx_ngt_f64_e32 0, v[16:17]
	s_xor_b32 s0, exec_lo, s0
	s_cbranch_execz .LBB3_38
; %bb.37:
	v_cmp_eq_f64_e32 vcc_lo, 0, v[16:17]
	v_mov_b32_e32 v7, 0
	v_mov_b32_e32 v11, v7
	v_cndmask_b32_e64 v6, 8, 16, vcc_lo
	v_cndmask_b32_e32 v13, v1, v3, vcc_lo
	v_cndmask_b32_e32 v12, v0, v2, vcc_lo
	v_cndmask_b32_e64 v10, 32, 24, vcc_lo
	v_cndmask_b32_e32 v9, v9, v15, vcc_lo
	v_cndmask_b32_e32 v8, v8, v14, vcc_lo
                                        ; implicit-def: $vgpr0_vgpr1
                                        ; implicit-def: $vgpr14_vgpr15
.LBB3_38:
	s_andn2_saveexec_b32 s0, s0
	s_cbranch_execz .LBB3_40
; %bb.39:
	v_mov_b32_e32 v10, 32
	v_mov_b32_e32 v6, 24
	;; [unrolled: 1-line block ×6, first 2 shown]
	flat_store_dwordx4 v[4:5], v[0:3] offset:8
.LBB3_40:
	s_or_b32 exec_lo, exec_lo, s0
	v_add_co_u32 v0, vcc_lo, v4, v6
	v_add_co_ci_u32_e64 v1, null, v5, v7, vcc_lo
	v_add_co_u32 v2, vcc_lo, v4, v10
	v_add_co_ci_u32_e64 v3, null, v5, v11, vcc_lo
	flat_store_dwordx2 v[0:1], v[12:13]
	flat_store_dwordx2 v[2:3], v[8:9]
	;; [unrolled: 1-line block ×3, first 2 shown]
	s_endpgm
	.section	.rodata,"a",@progbits
	.p2align	6, 0x0
	.amdhsa_kernel _ZL20rocblas_rotmg_kernelILi32EPKPdPKPKdEvT0_llS7_llS7_llT1_llS7_lli
		.amdhsa_group_segment_fixed_size 0
		.amdhsa_private_segment_fixed_size 0
		.amdhsa_kernarg_size 124
		.amdhsa_user_sgpr_count 6
		.amdhsa_user_sgpr_private_segment_buffer 1
		.amdhsa_user_sgpr_dispatch_ptr 0
		.amdhsa_user_sgpr_queue_ptr 0
		.amdhsa_user_sgpr_kernarg_segment_ptr 1
		.amdhsa_user_sgpr_dispatch_id 0
		.amdhsa_user_sgpr_flat_scratch_init 0
		.amdhsa_user_sgpr_private_segment_size 0
		.amdhsa_wavefront_size32 1
		.amdhsa_uses_dynamic_stack 0
		.amdhsa_system_sgpr_private_segment_wavefront_offset 0
		.amdhsa_system_sgpr_workgroup_id_x 1
		.amdhsa_system_sgpr_workgroup_id_y 0
		.amdhsa_system_sgpr_workgroup_id_z 0
		.amdhsa_system_sgpr_workgroup_info 0
		.amdhsa_system_vgpr_workitem_id 0
		.amdhsa_next_free_vgpr 38
		.amdhsa_next_free_sgpr 20
		.amdhsa_reserve_vcc 1
		.amdhsa_reserve_flat_scratch 0
		.amdhsa_float_round_mode_32 0
		.amdhsa_float_round_mode_16_64 0
		.amdhsa_float_denorm_mode_32 3
		.amdhsa_float_denorm_mode_16_64 3
		.amdhsa_dx10_clamp 1
		.amdhsa_ieee_mode 1
		.amdhsa_fp16_overflow 0
		.amdhsa_workgroup_processor_mode 1
		.amdhsa_memory_ordered 1
		.amdhsa_forward_progress 1
		.amdhsa_shared_vgpr_count 0
		.amdhsa_exception_fp_ieee_invalid_op 0
		.amdhsa_exception_fp_denorm_src 0
		.amdhsa_exception_fp_ieee_div_zero 0
		.amdhsa_exception_fp_ieee_overflow 0
		.amdhsa_exception_fp_ieee_underflow 0
		.amdhsa_exception_fp_ieee_inexact 0
		.amdhsa_exception_int_div_zero 0
	.end_amdhsa_kernel
	.section	.text._ZL20rocblas_rotmg_kernelILi32EPKPdPKPKdEvT0_llS7_llS7_llT1_llS7_lli,"axG",@progbits,_ZL20rocblas_rotmg_kernelILi32EPKPdPKPKdEvT0_llS7_llS7_llT1_llS7_lli,comdat
.Lfunc_end3:
	.size	_ZL20rocblas_rotmg_kernelILi32EPKPdPKPKdEvT0_llS7_llS7_llT1_llS7_lli, .Lfunc_end3-_ZL20rocblas_rotmg_kernelILi32EPKPdPKPKdEvT0_llS7_llS7_llT1_llS7_lli
                                        ; -- End function
	.set _ZL20rocblas_rotmg_kernelILi32EPKPdPKPKdEvT0_llS7_llS7_llT1_llS7_lli.num_vgpr, 38
	.set _ZL20rocblas_rotmg_kernelILi32EPKPdPKPKdEvT0_llS7_llS7_llT1_llS7_lli.num_agpr, 0
	.set _ZL20rocblas_rotmg_kernelILi32EPKPdPKPKdEvT0_llS7_llS7_llT1_llS7_lli.numbered_sgpr, 20
	.set _ZL20rocblas_rotmg_kernelILi32EPKPdPKPKdEvT0_llS7_llS7_llT1_llS7_lli.num_named_barrier, 0
	.set _ZL20rocblas_rotmg_kernelILi32EPKPdPKPKdEvT0_llS7_llS7_llT1_llS7_lli.private_seg_size, 0
	.set _ZL20rocblas_rotmg_kernelILi32EPKPdPKPKdEvT0_llS7_llS7_llT1_llS7_lli.uses_vcc, 1
	.set _ZL20rocblas_rotmg_kernelILi32EPKPdPKPKdEvT0_llS7_llS7_llT1_llS7_lli.uses_flat_scratch, 0
	.set _ZL20rocblas_rotmg_kernelILi32EPKPdPKPKdEvT0_llS7_llS7_llT1_llS7_lli.has_dyn_sized_stack, 0
	.set _ZL20rocblas_rotmg_kernelILi32EPKPdPKPKdEvT0_llS7_llS7_llT1_llS7_lli.has_recursion, 0
	.set _ZL20rocblas_rotmg_kernelILi32EPKPdPKPKdEvT0_llS7_llS7_llT1_llS7_lli.has_indirect_call, 0
	.section	.AMDGPU.csdata,"",@progbits
; Kernel info:
; codeLenInByte = 2908
; TotalNumSgprs: 22
; NumVgprs: 38
; ScratchSize: 0
; MemoryBound: 0
; FloatMode: 240
; IeeeMode: 1
; LDSByteSize: 0 bytes/workgroup (compile time only)
; SGPRBlocks: 0
; VGPRBlocks: 4
; NumSGPRsForWavesPerEU: 22
; NumVGPRsForWavesPerEU: 38
; Occupancy: 16
; WaveLimiterHint : 1
; COMPUTE_PGM_RSRC2:SCRATCH_EN: 0
; COMPUTE_PGM_RSRC2:USER_SGPR: 6
; COMPUTE_PGM_RSRC2:TRAP_HANDLER: 0
; COMPUTE_PGM_RSRC2:TGID_X_EN: 1
; COMPUTE_PGM_RSRC2:TGID_Y_EN: 0
; COMPUTE_PGM_RSRC2:TGID_Z_EN: 0
; COMPUTE_PGM_RSRC2:TIDIG_COMP_CNT: 0
	.section	.AMDGPU.gpr_maximums,"",@progbits
	.set amdgpu.max_num_vgpr, 0
	.set amdgpu.max_num_agpr, 0
	.set amdgpu.max_num_sgpr, 0
	.section	.AMDGPU.csdata,"",@progbits
	.type	__hip_cuid_421686a876a67770,@object ; @__hip_cuid_421686a876a67770
	.section	.bss,"aw",@nobits
	.globl	__hip_cuid_421686a876a67770
__hip_cuid_421686a876a67770:
	.byte	0                               ; 0x0
	.size	__hip_cuid_421686a876a67770, 1

	.ident	"AMD clang version 22.0.0git (https://github.com/RadeonOpenCompute/llvm-project roc-7.2.4 26084 f58b06dce1f9c15707c5f808fd002e18c2accf7e)"
	.section	".note.GNU-stack","",@progbits
	.addrsig
	.addrsig_sym __hip_cuid_421686a876a67770
	.amdgpu_metadata
---
amdhsa.kernels:
  - .args:
      - .address_space:  global
        .offset:         0
        .size:           8
        .value_kind:     global_buffer
      - .offset:         8
        .size:           8
        .value_kind:     by_value
      - .offset:         16
        .size:           8
        .value_kind:     by_value
      - .address_space:  global
        .offset:         24
        .size:           8
        .value_kind:     global_buffer
      - .offset:         32
        .size:           8
        .value_kind:     by_value
      - .offset:         40
        .size:           8
        .value_kind:     by_value
      - .address_space:  global
        .offset:         48
        .size:           8
        .value_kind:     global_buffer
      - .offset:         56
        .size:           8
        .value_kind:     by_value
      - .offset:         64
        .size:           8
        .value_kind:     by_value
      - .address_space:  global
        .offset:         72
        .size:           8
        .value_kind:     global_buffer
      - .offset:         80
        .size:           8
        .value_kind:     by_value
      - .offset:         88
        .size:           8
        .value_kind:     by_value
      - .address_space:  global
        .offset:         96
        .size:           8
        .value_kind:     global_buffer
      - .offset:         104
        .size:           8
        .value_kind:     by_value
      - .offset:         112
        .size:           8
        .value_kind:     by_value
      - .offset:         120
        .size:           4
        .value_kind:     by_value
    .group_segment_fixed_size: 0
    .kernarg_segment_align: 8
    .kernarg_segment_size: 124
    .language:       OpenCL C
    .language_version:
      - 2
      - 0
    .max_flat_workgroup_size: 32
    .name:           _ZL20rocblas_rotmg_kernelILi32EPfPKfEvT0_llS3_llS3_llT1_llS3_lli
    .private_segment_fixed_size: 0
    .sgpr_count:     34
    .sgpr_spill_count: 0
    .symbol:         _ZL20rocblas_rotmg_kernelILi32EPfPKfEvT0_llS3_llS3_llT1_llS3_lli.kd
    .uniform_work_group_size: 1
    .uses_dynamic_stack: false
    .vgpr_count:     26
    .vgpr_spill_count: 0
    .wavefront_size: 32
    .workgroup_processor_mode: 1
  - .args:
      - .address_space:  global
        .offset:         0
        .size:           8
        .value_kind:     global_buffer
      - .offset:         8
        .size:           8
        .value_kind:     by_value
      - .offset:         16
        .size:           8
        .value_kind:     by_value
      - .address_space:  global
        .offset:         24
        .size:           8
        .value_kind:     global_buffer
      - .offset:         32
        .size:           8
        .value_kind:     by_value
      - .offset:         40
        .size:           8
        .value_kind:     by_value
      - .address_space:  global
        .offset:         48
        .size:           8
        .value_kind:     global_buffer
      - .offset:         56
        .size:           8
        .value_kind:     by_value
      - .offset:         64
        .size:           8
        .value_kind:     by_value
      - .address_space:  global
        .offset:         72
        .size:           8
        .value_kind:     global_buffer
      - .offset:         80
        .size:           8
        .value_kind:     by_value
      - .offset:         88
        .size:           8
        .value_kind:     by_value
      - .address_space:  global
        .offset:         96
        .size:           8
        .value_kind:     global_buffer
      - .offset:         104
        .size:           8
        .value_kind:     by_value
      - .offset:         112
        .size:           8
        .value_kind:     by_value
      - .offset:         120
        .size:           4
        .value_kind:     by_value
    .group_segment_fixed_size: 0
    .kernarg_segment_align: 8
    .kernarg_segment_size: 124
    .language:       OpenCL C
    .language_version:
      - 2
      - 0
    .max_flat_workgroup_size: 32
    .name:           _ZL20rocblas_rotmg_kernelILi32EPdPKdEvT0_llS3_llS3_llT1_llS3_lli
    .private_segment_fixed_size: 0
    .sgpr_count:     34
    .sgpr_spill_count: 0
    .symbol:         _ZL20rocblas_rotmg_kernelILi32EPdPKdEvT0_llS3_llS3_llT1_llS3_lli.kd
    .uniform_work_group_size: 1
    .uses_dynamic_stack: false
    .vgpr_count:     38
    .vgpr_spill_count: 0
    .wavefront_size: 32
    .workgroup_processor_mode: 1
  - .args:
      - .address_space:  global
        .offset:         0
        .size:           8
        .value_kind:     global_buffer
      - .offset:         8
        .size:           8
        .value_kind:     by_value
      - .offset:         16
        .size:           8
        .value_kind:     by_value
      - .address_space:  global
        .offset:         24
        .size:           8
        .value_kind:     global_buffer
      - .offset:         32
        .size:           8
        .value_kind:     by_value
      - .offset:         40
        .size:           8
        .value_kind:     by_value
      - .address_space:  global
        .offset:         48
        .size:           8
        .value_kind:     global_buffer
      - .offset:         56
        .size:           8
        .value_kind:     by_value
      - .offset:         64
        .size:           8
        .value_kind:     by_value
      - .address_space:  global
        .offset:         72
        .size:           8
        .value_kind:     global_buffer
      - .offset:         80
        .size:           8
        .value_kind:     by_value
      - .offset:         88
        .size:           8
        .value_kind:     by_value
      - .address_space:  global
        .offset:         96
        .size:           8
        .value_kind:     global_buffer
      - .offset:         104
        .size:           8
        .value_kind:     by_value
      - .offset:         112
        .size:           8
        .value_kind:     by_value
      - .offset:         120
        .size:           4
        .value_kind:     by_value
    .group_segment_fixed_size: 0
    .kernarg_segment_align: 8
    .kernarg_segment_size: 124
    .language:       OpenCL C
    .language_version:
      - 2
      - 0
    .max_flat_workgroup_size: 32
    .name:           _ZL20rocblas_rotmg_kernelILi32EPKPfPKPKfEvT0_llS7_llS7_llT1_llS7_lli
    .private_segment_fixed_size: 0
    .sgpr_count:     22
    .sgpr_spill_count: 0
    .symbol:         _ZL20rocblas_rotmg_kernelILi32EPKPfPKPKfEvT0_llS7_llS7_llT1_llS7_lli.kd
    .uniform_work_group_size: 1
    .uses_dynamic_stack: false
    .vgpr_count:     26
    .vgpr_spill_count: 0
    .wavefront_size: 32
    .workgroup_processor_mode: 1
  - .args:
      - .address_space:  global
        .offset:         0
        .size:           8
        .value_kind:     global_buffer
      - .offset:         8
        .size:           8
        .value_kind:     by_value
      - .offset:         16
        .size:           8
        .value_kind:     by_value
      - .address_space:  global
        .offset:         24
        .size:           8
        .value_kind:     global_buffer
      - .offset:         32
        .size:           8
        .value_kind:     by_value
      - .offset:         40
        .size:           8
        .value_kind:     by_value
      - .address_space:  global
        .offset:         48
        .size:           8
        .value_kind:     global_buffer
      - .offset:         56
        .size:           8
        .value_kind:     by_value
      - .offset:         64
        .size:           8
        .value_kind:     by_value
      - .address_space:  global
        .offset:         72
        .size:           8
        .value_kind:     global_buffer
      - .offset:         80
        .size:           8
        .value_kind:     by_value
      - .offset:         88
        .size:           8
        .value_kind:     by_value
      - .address_space:  global
        .offset:         96
        .size:           8
        .value_kind:     global_buffer
      - .offset:         104
        .size:           8
        .value_kind:     by_value
      - .offset:         112
        .size:           8
        .value_kind:     by_value
      - .offset:         120
        .size:           4
        .value_kind:     by_value
    .group_segment_fixed_size: 0
    .kernarg_segment_align: 8
    .kernarg_segment_size: 124
    .language:       OpenCL C
    .language_version:
      - 2
      - 0
    .max_flat_workgroup_size: 32
    .name:           _ZL20rocblas_rotmg_kernelILi32EPKPdPKPKdEvT0_llS7_llS7_llT1_llS7_lli
    .private_segment_fixed_size: 0
    .sgpr_count:     22
    .sgpr_spill_count: 0
    .symbol:         _ZL20rocblas_rotmg_kernelILi32EPKPdPKPKdEvT0_llS7_llS7_llT1_llS7_lli.kd
    .uniform_work_group_size: 1
    .uses_dynamic_stack: false
    .vgpr_count:     38
    .vgpr_spill_count: 0
    .wavefront_size: 32
    .workgroup_processor_mode: 1
amdhsa.target:   amdgcn-amd-amdhsa--gfx1030
amdhsa.version:
  - 1
  - 2
...

	.end_amdgpu_metadata
